;; amdgpu-corpus repo=ROCm/rocFFT kind=compiled arch=gfx1030 opt=O3
	.text
	.amdgcn_target "amdgcn-amd-amdhsa--gfx1030"
	.amdhsa_code_object_version 6
	.protected	fft_rtc_fwd_len2401_factors_7_7_7_7_wgs_49_tpt_49_halfLds_half_op_CI_CI_sbrr_dirReg ; -- Begin function fft_rtc_fwd_len2401_factors_7_7_7_7_wgs_49_tpt_49_halfLds_half_op_CI_CI_sbrr_dirReg
	.globl	fft_rtc_fwd_len2401_factors_7_7_7_7_wgs_49_tpt_49_halfLds_half_op_CI_CI_sbrr_dirReg
	.p2align	8
	.type	fft_rtc_fwd_len2401_factors_7_7_7_7_wgs_49_tpt_49_halfLds_half_op_CI_CI_sbrr_dirReg,@function
fft_rtc_fwd_len2401_factors_7_7_7_7_wgs_49_tpt_49_halfLds_half_op_CI_CI_sbrr_dirReg: ; @fft_rtc_fwd_len2401_factors_7_7_7_7_wgs_49_tpt_49_halfLds_half_op_CI_CI_sbrr_dirReg
; %bb.0:
	s_clause 0x2
	s_load_dwordx4 s[16:19], s[4:5], 0x18
	s_load_dwordx4 s[12:15], s[4:5], 0x0
	;; [unrolled: 1-line block ×3, first 2 shown]
	v_mul_u32_u24_e32 v1, 0x53a, v0
	v_mov_b32_e32 v3, 0
	s_waitcnt lgkmcnt(0)
	s_load_dwordx2 s[20:21], s[16:17], 0x0
	s_load_dwordx2 s[2:3], s[18:19], 0x0
	v_cmp_lt_u64_e64 s0, s[14:15], 2
	v_add_nc_u32_sdwa v5, s6, v1 dst_sel:DWORD dst_unused:UNUSED_PAD src0_sel:DWORD src1_sel:WORD_1
	v_mov_b32_e32 v1, 0
	v_mov_b32_e32 v6, v3
	;; [unrolled: 1-line block ×3, first 2 shown]
	s_and_b32 vcc_lo, exec_lo, s0
	s_cbranch_vccnz .LBB0_8
; %bb.1:
	s_load_dwordx2 s[0:1], s[4:5], 0x10
	v_mov_b32_e32 v1, 0
	v_mov_b32_e32 v2, 0
	s_add_u32 s6, s18, 8
	s_addc_u32 s7, s19, 0
	s_add_u32 s22, s16, 8
	s_addc_u32 s23, s17, 0
	v_mov_b32_e32 v17, v2
	v_mov_b32_e32 v16, v1
	s_mov_b64 s[26:27], 1
	s_waitcnt lgkmcnt(0)
	s_add_u32 s24, s0, 8
	s_addc_u32 s25, s1, 0
.LBB0_2:                                ; =>This Inner Loop Header: Depth=1
	s_load_dwordx2 s[28:29], s[24:25], 0x0
                                        ; implicit-def: $vgpr18_vgpr19
	s_mov_b32 s0, exec_lo
	s_waitcnt lgkmcnt(0)
	v_or_b32_e32 v4, s29, v6
	v_cmpx_ne_u64_e32 0, v[3:4]
	s_xor_b32 s1, exec_lo, s0
	s_cbranch_execz .LBB0_4
; %bb.3:                                ;   in Loop: Header=BB0_2 Depth=1
	v_cvt_f32_u32_e32 v4, s28
	v_cvt_f32_u32_e32 v7, s29
	s_sub_u32 s0, 0, s28
	s_subb_u32 s30, 0, s29
	v_fmac_f32_e32 v4, 0x4f800000, v7
	v_rcp_f32_e32 v4, v4
	v_mul_f32_e32 v4, 0x5f7ffffc, v4
	v_mul_f32_e32 v7, 0x2f800000, v4
	v_trunc_f32_e32 v7, v7
	v_fmac_f32_e32 v4, 0xcf800000, v7
	v_cvt_u32_f32_e32 v7, v7
	v_cvt_u32_f32_e32 v4, v4
	v_mul_lo_u32 v8, s0, v7
	v_mul_hi_u32 v9, s0, v4
	v_mul_lo_u32 v10, s30, v4
	v_add_nc_u32_e32 v8, v9, v8
	v_mul_lo_u32 v9, s0, v4
	v_add_nc_u32_e32 v8, v8, v10
	v_mul_hi_u32 v10, v4, v9
	v_mul_lo_u32 v11, v4, v8
	v_mul_hi_u32 v12, v4, v8
	v_mul_hi_u32 v13, v7, v9
	v_mul_lo_u32 v9, v7, v9
	v_mul_hi_u32 v14, v7, v8
	v_mul_lo_u32 v8, v7, v8
	v_add_co_u32 v10, vcc_lo, v10, v11
	v_add_co_ci_u32_e32 v11, vcc_lo, 0, v12, vcc_lo
	v_add_co_u32 v9, vcc_lo, v10, v9
	v_add_co_ci_u32_e32 v9, vcc_lo, v11, v13, vcc_lo
	v_add_co_ci_u32_e32 v10, vcc_lo, 0, v14, vcc_lo
	v_add_co_u32 v8, vcc_lo, v9, v8
	v_add_co_ci_u32_e32 v9, vcc_lo, 0, v10, vcc_lo
	v_add_co_u32 v4, vcc_lo, v4, v8
	v_add_co_ci_u32_e32 v7, vcc_lo, v7, v9, vcc_lo
	v_mul_hi_u32 v8, s0, v4
	v_mul_lo_u32 v10, s30, v4
	v_mul_lo_u32 v9, s0, v7
	v_add_nc_u32_e32 v8, v8, v9
	v_mul_lo_u32 v9, s0, v4
	v_add_nc_u32_e32 v8, v8, v10
	v_mul_hi_u32 v10, v4, v9
	v_mul_lo_u32 v11, v4, v8
	v_mul_hi_u32 v12, v4, v8
	v_mul_hi_u32 v13, v7, v9
	v_mul_lo_u32 v9, v7, v9
	v_mul_hi_u32 v14, v7, v8
	v_mul_lo_u32 v8, v7, v8
	v_add_co_u32 v10, vcc_lo, v10, v11
	v_add_co_ci_u32_e32 v11, vcc_lo, 0, v12, vcc_lo
	v_add_co_u32 v9, vcc_lo, v10, v9
	v_add_co_ci_u32_e32 v9, vcc_lo, v11, v13, vcc_lo
	v_add_co_ci_u32_e32 v10, vcc_lo, 0, v14, vcc_lo
	v_add_co_u32 v8, vcc_lo, v9, v8
	v_add_co_ci_u32_e32 v9, vcc_lo, 0, v10, vcc_lo
	v_add_co_u32 v4, vcc_lo, v4, v8
	v_add_co_ci_u32_e32 v11, vcc_lo, v7, v9, vcc_lo
	v_mul_hi_u32 v13, v5, v4
	v_mad_u64_u32 v[9:10], null, v6, v4, 0
	v_mad_u64_u32 v[7:8], null, v5, v11, 0
	v_mad_u64_u32 v[11:12], null, v6, v11, 0
	v_add_co_u32 v4, vcc_lo, v13, v7
	v_add_co_ci_u32_e32 v7, vcc_lo, 0, v8, vcc_lo
	v_add_co_u32 v4, vcc_lo, v4, v9
	v_add_co_ci_u32_e32 v4, vcc_lo, v7, v10, vcc_lo
	v_add_co_ci_u32_e32 v7, vcc_lo, 0, v12, vcc_lo
	v_add_co_u32 v4, vcc_lo, v4, v11
	v_add_co_ci_u32_e32 v9, vcc_lo, 0, v7, vcc_lo
	v_mul_lo_u32 v10, s29, v4
	v_mad_u64_u32 v[7:8], null, s28, v4, 0
	v_mul_lo_u32 v11, s28, v9
	v_sub_co_u32 v7, vcc_lo, v5, v7
	v_add3_u32 v8, v8, v11, v10
	v_sub_nc_u32_e32 v10, v6, v8
	v_subrev_co_ci_u32_e64 v10, s0, s29, v10, vcc_lo
	v_add_co_u32 v11, s0, v4, 2
	v_add_co_ci_u32_e64 v12, s0, 0, v9, s0
	v_sub_co_u32 v13, s0, v7, s28
	v_sub_co_ci_u32_e32 v8, vcc_lo, v6, v8, vcc_lo
	v_subrev_co_ci_u32_e64 v10, s0, 0, v10, s0
	v_cmp_le_u32_e32 vcc_lo, s28, v13
	v_cmp_eq_u32_e64 s0, s29, v8
	v_cndmask_b32_e64 v13, 0, -1, vcc_lo
	v_cmp_le_u32_e32 vcc_lo, s29, v10
	v_cndmask_b32_e64 v14, 0, -1, vcc_lo
	v_cmp_le_u32_e32 vcc_lo, s28, v7
	;; [unrolled: 2-line block ×3, first 2 shown]
	v_cndmask_b32_e64 v15, 0, -1, vcc_lo
	v_cmp_eq_u32_e32 vcc_lo, s29, v10
	v_cndmask_b32_e64 v7, v15, v7, s0
	v_cndmask_b32_e32 v10, v14, v13, vcc_lo
	v_add_co_u32 v13, vcc_lo, v4, 1
	v_add_co_ci_u32_e32 v14, vcc_lo, 0, v9, vcc_lo
	v_cmp_ne_u32_e32 vcc_lo, 0, v10
	v_cndmask_b32_e32 v8, v14, v12, vcc_lo
	v_cndmask_b32_e32 v10, v13, v11, vcc_lo
	v_cmp_ne_u32_e32 vcc_lo, 0, v7
	v_cndmask_b32_e32 v19, v9, v8, vcc_lo
	v_cndmask_b32_e32 v18, v4, v10, vcc_lo
.LBB0_4:                                ;   in Loop: Header=BB0_2 Depth=1
	s_andn2_saveexec_b32 s0, s1
	s_cbranch_execz .LBB0_6
; %bb.5:                                ;   in Loop: Header=BB0_2 Depth=1
	v_cvt_f32_u32_e32 v4, s28
	s_sub_i32 s1, 0, s28
	v_mov_b32_e32 v19, v3
	v_rcp_iflag_f32_e32 v4, v4
	v_mul_f32_e32 v4, 0x4f7ffffe, v4
	v_cvt_u32_f32_e32 v4, v4
	v_mul_lo_u32 v7, s1, v4
	v_mul_hi_u32 v7, v4, v7
	v_add_nc_u32_e32 v4, v4, v7
	v_mul_hi_u32 v4, v5, v4
	v_mul_lo_u32 v7, v4, s28
	v_add_nc_u32_e32 v8, 1, v4
	v_sub_nc_u32_e32 v7, v5, v7
	v_subrev_nc_u32_e32 v9, s28, v7
	v_cmp_le_u32_e32 vcc_lo, s28, v7
	v_cndmask_b32_e32 v7, v7, v9, vcc_lo
	v_cndmask_b32_e32 v4, v4, v8, vcc_lo
	v_cmp_le_u32_e32 vcc_lo, s28, v7
	v_add_nc_u32_e32 v8, 1, v4
	v_cndmask_b32_e32 v18, v4, v8, vcc_lo
.LBB0_6:                                ;   in Loop: Header=BB0_2 Depth=1
	s_or_b32 exec_lo, exec_lo, s0
	v_mul_lo_u32 v4, v19, s28
	v_mul_lo_u32 v9, v18, s29
	s_load_dwordx2 s[0:1], s[22:23], 0x0
	v_mad_u64_u32 v[7:8], null, v18, s28, 0
	s_load_dwordx2 s[28:29], s[6:7], 0x0
	s_add_u32 s26, s26, 1
	s_addc_u32 s27, s27, 0
	s_add_u32 s6, s6, 8
	s_addc_u32 s7, s7, 0
	s_add_u32 s22, s22, 8
	v_add3_u32 v4, v8, v9, v4
	v_sub_co_u32 v5, vcc_lo, v5, v7
	s_addc_u32 s23, s23, 0
	s_add_u32 s24, s24, 8
	v_sub_co_ci_u32_e32 v4, vcc_lo, v6, v4, vcc_lo
	s_addc_u32 s25, s25, 0
	s_waitcnt lgkmcnt(0)
	v_mul_lo_u32 v6, s0, v4
	v_mul_lo_u32 v7, s1, v5
	v_mad_u64_u32 v[1:2], null, s0, v5, v[1:2]
	v_mul_lo_u32 v4, s28, v4
	v_mul_lo_u32 v8, s29, v5
	v_mad_u64_u32 v[16:17], null, s28, v5, v[16:17]
	v_cmp_ge_u64_e64 s0, s[26:27], s[14:15]
	v_add3_u32 v2, v7, v2, v6
	v_add3_u32 v17, v8, v17, v4
	s_and_b32 vcc_lo, exec_lo, s0
	s_cbranch_vccnz .LBB0_9
; %bb.7:                                ;   in Loop: Header=BB0_2 Depth=1
	v_mov_b32_e32 v5, v18
	v_mov_b32_e32 v6, v19
	s_branch .LBB0_2
.LBB0_8:
	v_mov_b32_e32 v17, v2
	v_mov_b32_e32 v19, v6
	;; [unrolled: 1-line block ×4, first 2 shown]
.LBB0_9:
	s_load_dwordx2 s[0:1], s[4:5], 0x28
	v_mul_hi_u32 v51, 0x539782a, v0
	s_lshl_b64 s[6:7], s[14:15], 3
                                        ; implicit-def: $sgpr14
                                        ; implicit-def: $vgpr52
                                        ; implicit-def: $vgpr53
                                        ; implicit-def: $vgpr54
                                        ; implicit-def: $vgpr55
                                        ; implicit-def: $vgpr56
                                        ; implicit-def: $vgpr58
                                        ; implicit-def: $vgpr57
	s_add_u32 s4, s18, s6
	s_addc_u32 s5, s19, s7
	s_waitcnt lgkmcnt(0)
	v_cmp_gt_u64_e32 vcc_lo, s[0:1], v[18:19]
	v_cmp_le_u64_e64 s0, s[0:1], v[18:19]
	s_and_saveexec_b32 s1, s0
	s_xor_b32 s0, exec_lo, s1
; %bb.10:
	v_mul_u32_u24_e32 v1, 49, v51
	s_mov_b32 s14, 0
                                        ; implicit-def: $vgpr51
	v_sub_nc_u32_e32 v52, v0, v1
                                        ; implicit-def: $vgpr0
                                        ; implicit-def: $vgpr1_vgpr2
	v_add_nc_u32_e32 v53, 49, v52
	v_add_nc_u32_e32 v54, 0x62, v52
	v_add_nc_u32_e32 v55, 0x93, v52
	v_add_nc_u32_e32 v56, 0xc4, v52
	v_add_nc_u32_e32 v58, 0xf5, v52
	v_add_nc_u32_e32 v57, 0x126, v52
; %bb.11:
	s_or_saveexec_b32 s1, s0
	v_mov_b32_e32 v66, s14
	v_mov_b32_e32 v65, s14
	;; [unrolled: 1-line block ×28, first 2 shown]
                                        ; implicit-def: $vgpr10
                                        ; implicit-def: $vgpr33
                                        ; implicit-def: $vgpr11
                                        ; implicit-def: $vgpr32
                                        ; implicit-def: $vgpr9
                                        ; implicit-def: $vgpr37
                                        ; implicit-def: $vgpr36
                                        ; implicit-def: $vgpr38
                                        ; implicit-def: $vgpr12
                                        ; implicit-def: $vgpr45
                                        ; implicit-def: $vgpr69
                                        ; implicit-def: $vgpr48
                                        ; implicit-def: $vgpr68
                                        ; implicit-def: $vgpr49
                                        ; implicit-def: $vgpr14
                                        ; implicit-def: $vgpr20
                                        ; implicit-def: $vgpr28
                                        ; implicit-def: $vgpr29
                                        ; implicit-def: $vgpr46
                                        ; implicit-def: $vgpr47
                                        ; implicit-def: $vgpr60
                                        ; implicit-def: $vgpr62
                                        ; implicit-def: $vgpr43
                                        ; implicit-def: $vgpr64
                                        ; implicit-def: $vgpr26
                                        ; implicit-def: $vgpr35
                                        ; implicit-def: $vgpr70
                                        ; implicit-def: $vgpr71
	s_xor_b32 exec_lo, exec_lo, s1
	s_cbranch_execz .LBB0_13
; %bb.12:
	s_add_u32 s6, s16, s6
	s_addc_u32 s7, s17, s7
	v_mul_u32_u24_e32 v3, 49, v51
	s_load_dwordx2 s[6:7], s[6:7], 0x0
	v_sub_nc_u32_e32 v52, v0, v3
	v_lshlrev_b64 v[0:1], 2, v[1:2]
	v_mad_u64_u32 v[3:4], null, s20, v52, 0
	v_add_nc_u32_e32 v14, 0x157, v52
	v_add_nc_u32_e32 v22, 0x2ae, v52
	;; [unrolled: 1-line block ×5, first 2 shown]
	v_mad_u64_u32 v[5:6], null, s20, v14, 0
	v_mov_b32_e32 v2, v4
	v_mad_u64_u32 v[7:8], null, s20, v22, 0
	s_waitcnt lgkmcnt(0)
	v_mul_lo_u32 v4, s7, v18
	v_mul_lo_u32 v15, s6, v19
	v_mad_u64_u32 v[9:10], null, s6, v18, 0
	v_mad_u64_u32 v[11:12], null, s21, v52, v[2:3]
	v_mov_b32_e32 v2, v6
	v_mad_u64_u32 v[12:13], null, s20, v23, 0
	v_mov_b32_e32 v6, v8
	v_add3_u32 v10, v10, v15, v4
	v_mad_u64_u32 v[14:15], null, s21, v14, v[2:3]
	v_mov_b32_e32 v4, v11
	v_mad_u64_u32 v[20:21], null, s20, v24, 0
	v_lshlrev_b64 v[8:9], 2, v[9:10]
	v_mad_u64_u32 v[10:11], null, s21, v22, v[6:7]
	v_lshlrev_b64 v[3:4], 2, v[3:4]
	v_mov_b32_e32 v2, v13
	v_mov_b32_e32 v6, v14
	v_add_co_u32 v11, s0, s8, v8
	v_add_co_ci_u32_e64 v9, s0, s9, v9, s0
	v_add_nc_u32_e32 v14, 0x6b3, v52
	v_add_co_u32 v59, s0, v11, v0
	v_mov_b32_e32 v8, v10
	v_add_co_ci_u32_e64 v60, s0, v9, v1, s0
	v_mad_u64_u32 v[9:10], null, s21, v23, v[2:3]
	v_mad_u64_u32 v[10:11], null, s20, v14, 0
	v_lshlrev_b64 v[5:6], 2, v[5:6]
	v_add_co_u32 v0, s0, v59, v3
	v_add_co_ci_u32_e64 v1, s0, v60, v4, s0
	v_mov_b32_e32 v13, v9
	v_mov_b32_e32 v9, v11
	v_add_co_u32 v2, s0, v59, v5
	v_add_co_ci_u32_e64 v3, s0, v60, v6, s0
	v_mov_b32_e32 v6, v21
	v_mad_u64_u32 v[14:15], null, s21, v14, v[9:10]
	v_lshlrev_b64 v[4:5], 2, v[7:8]
	v_add_nc_u32_e32 v22, 0x80a, v52
	v_mad_u64_u32 v[6:7], null, s21, v24, v[6:7]
	v_lshlrev_b64 v[7:8], 2, v[12:13]
	v_add_nc_u32_e32 v24, 0x188, v52
	v_mad_u64_u32 v[12:13], null, s20, v22, 0
	v_mov_b32_e32 v11, v14
	v_mad_u64_u32 v[14:15], null, s20, v53, 0
	v_add_co_u32 v4, s0, v59, v4
	v_mov_b32_e32 v21, v6
	v_add_co_ci_u32_e64 v5, s0, v60, v5, s0
	v_add_co_u32 v6, s0, v59, v7
	v_add_co_ci_u32_e64 v7, s0, v60, v8, s0
	v_lshlrev_b64 v[8:9], 2, v[20:21]
	v_mad_u64_u32 v[20:21], null, s21, v22, v[13:14]
	v_mad_u64_u32 v[22:23], null, s21, v53, v[15:16]
	v_add_nc_u32_e32 v26, 0x2df, v52
	v_add_nc_u32_e32 v28, 0x436, v52
	;; [unrolled: 1-line block ×4, first 2 shown]
	v_mov_b32_e32 v13, v20
	v_mad_u64_u32 v[20:21], null, s20, v24, 0
	v_mov_b32_e32 v15, v22
	v_mad_u64_u32 v[22:23], null, s20, v26, 0
	v_lshlrev_b64 v[10:11], 2, v[10:11]
	v_add_co_u32 v8, s0, v59, v8
	v_lshlrev_b64 v[12:13], 2, v[12:13]
	v_add_co_ci_u32_e64 v9, s0, v60, v9, s0
	v_mad_u64_u32 v[24:25], null, s21, v24, v[21:22]
	v_add_co_u32 v10, s0, v59, v10
	v_lshlrev_b64 v[14:15], 2, v[14:15]
	v_add_nc_u32_e32 v54, 0x62, v52
	v_add_co_ci_u32_e64 v11, s0, v60, v11, s0
	v_mov_b32_e32 v21, v24
	v_mad_u64_u32 v[24:25], null, s20, v28, 0
	v_add_co_u32 v12, s0, v59, v12
	v_lshlrev_b64 v[20:21], 2, v[20:21]
	v_add_co_ci_u32_e64 v13, s0, v60, v13, s0
	v_add_co_u32 v14, s0, v59, v14
	v_mad_u64_u32 v[26:27], null, s21, v26, v[23:24]
	v_mad_u64_u32 v[36:37], null, s20, v54, 0
	v_add_co_ci_u32_e64 v15, s0, v60, v15, s0
	v_add_co_u32 v20, s0, v59, v20
	v_mov_b32_e32 v23, v26
	v_mad_u64_u32 v[26:27], null, s20, v30, 0
	v_add_co_ci_u32_e64 v21, s0, v60, v21, s0
	v_lshlrev_b64 v[22:23], 2, v[22:23]
	v_add_nc_u32_e32 v42, 0x1b9, v52
	v_add_nc_u32_e32 v44, 0x310, v52
	;; [unrolled: 1-line block ×3, first 2 shown]
	v_mad_u64_u32 v[28:29], null, s21, v28, v[25:26]
	v_add_co_u32 v22, s0, v59, v22
	v_add_co_ci_u32_e64 v23, s0, v60, v23, s0
	v_mad_u64_u32 v[38:39], null, s20, v42, 0
	v_mov_b32_e32 v25, v28
	v_mad_u64_u32 v[28:29], null, s20, v34, 0
	v_mad_u64_u32 v[40:41], null, s20, v44, 0
	v_lshlrev_b64 v[24:25], 2, v[24:25]
	v_add_nc_u32_e32 v48, 0x5be, v52
	v_add_nc_u32_e32 v49, 0x715, v52
	;; [unrolled: 1-line block ×3, first 2 shown]
	v_mad_u64_u32 v[30:31], null, s21, v30, v[27:28]
	v_add_nc_u32_e32 v31, 0x83b, v52
	v_add_co_u32 v24, s0, v59, v24
	v_add_co_ci_u32_e64 v25, s0, v60, v25, s0
	v_mad_u64_u32 v[32:33], null, s20, v31, 0
	v_mov_b32_e32 v27, v30
	v_mad_u64_u32 v[29:30], null, s21, v34, v[29:30]
	v_add_nc_u32_e32 v55, 0x93, v52
	v_add_nc_u32_e32 v58, 0x1ea, v52
	v_lshlrev_b64 v[26:27], 2, v[26:27]
	v_mov_b32_e32 v30, v33
	v_add_nc_u32_e32 v65, 0x498, v52
	v_mad_u64_u32 v[50:51], null, s20, v55, 0
	v_lshlrev_b64 v[28:29], 2, v[28:29]
	v_mad_u64_u32 v[30:31], null, s21, v31, v[30:31]
	v_mov_b32_e32 v31, v37
	v_add_co_u32 v26, s0, v59, v26
	v_add_co_ci_u32_e64 v27, s0, v60, v27, s0
	v_mad_u64_u32 v[34:35], null, s21, v54, v[31:32]
	v_mov_b32_e32 v33, v30
	v_add_co_u32 v30, s0, v59, v28
	v_add_co_ci_u32_e64 v31, s0, v60, v29, s0
	v_lshlrev_b64 v[28:29], 2, v[32:33]
	v_mov_b32_e32 v32, v39
	v_mov_b32_e32 v37, v34
	v_mad_u64_u32 v[61:62], null, s20, v65, 0
	v_add_nc_u32_e32 v69, 0x5ef, v52
	v_add_co_u32 v34, s0, v59, v28
	v_mov_b32_e32 v28, v41
	v_mad_u64_u32 v[32:33], null, s21, v42, v[32:33]
	v_mad_u64_u32 v[42:43], null, s20, v46, 0
	v_lshlrev_b64 v[36:37], 2, v[36:37]
	v_mad_u64_u32 v[44:45], null, s21, v44, v[28:29]
	v_add_co_ci_u32_e64 v35, s0, v60, v29, s0
	v_mov_b32_e32 v39, v32
	v_add_co_u32 v28, s0, v59, v36
	v_mov_b32_e32 v36, v43
	v_mov_b32_e32 v41, v44
	v_mad_u64_u32 v[44:45], null, s20, v48, 0
	v_add_co_ci_u32_e64 v29, s0, v60, v37, s0
	v_mad_u64_u32 v[36:37], null, s21, v46, v[36:37]
	v_mad_u64_u32 v[46:47], null, s20, v49, 0
	v_lshlrev_b64 v[32:33], 2, v[38:39]
	v_lshlrev_b64 v[37:38], 2, v[40:41]
	v_mov_b32_e32 v39, v45
	v_mad_u64_u32 v[63:64], null, s20, v69, 0
	v_mov_b32_e32 v43, v36
	v_mov_b32_e32 v36, v47
	v_mad_u64_u32 v[39:40], null, s21, v48, v[39:40]
	v_add_co_u32 v32, s0, v59, v32
	v_mad_u64_u32 v[40:41], null, s21, v49, v[36:37]
	v_mad_u64_u32 v[48:49], null, s20, v56, 0
	v_add_co_ci_u32_e64 v33, s0, v60, v33, s0
	v_add_co_u32 v36, s0, v59, v37
	v_add_co_ci_u32_e64 v37, s0, v60, v38, s0
	v_mov_b32_e32 v38, v49
	v_lshlrev_b64 v[41:42], 2, v[42:43]
	v_mov_b32_e32 v45, v39
	v_mov_b32_e32 v47, v40
	v_add_nc_u32_e32 v70, 0x746, v52
	v_mad_u64_u32 v[56:57], null, s21, v56, v[38:39]
	v_add_co_u32 v38, s0, v59, v41
	v_lshlrev_b64 v[40:41], 2, v[44:45]
	v_add_co_ci_u32_e64 v39, s0, v60, v42, s0
	v_mov_b32_e32 v42, v51
	v_mov_b32_e32 v49, v56
	v_mad_u64_u32 v[56:57], null, s20, v58, 0
	v_lshlrev_b64 v[44:45], 2, v[46:47]
	v_mad_u64_u32 v[46:47], null, s21, v55, v[42:43]
	v_add_co_u32 v42, s0, v59, v40
	v_add_co_ci_u32_e64 v43, s0, v60, v41, s0
	v_lshlrev_b64 v[40:41], 2, v[48:49]
	v_mov_b32_e32 v48, v57
	v_add_co_u32 v44, s0, v59, v44
	v_mov_b32_e32 v51, v46
	v_add_co_ci_u32_e64 v45, s0, v60, v45, s0
	v_mad_u64_u32 v[48:49], null, s21, v58, v[48:49]
	v_add_nc_u32_e32 v58, 0x341, v52
	v_add_co_u32 v46, s0, v59, v40
	v_add_co_ci_u32_e64 v47, s0, v60, v41, s0
	v_lshlrev_b64 v[40:41], 2, v[50:51]
	v_mov_b32_e32 v57, v48
	v_mov_b32_e32 v48, v62
	v_mad_u64_u32 v[50:51], null, s20, v58, 0
	v_add_nc_u32_e32 v79, 0x21b, v52
	v_lshlrev_b64 v[56:57], 2, v[56:57]
	v_mad_u64_u32 v[48:49], null, s21, v65, v[48:49]
	v_mad_u64_u32 v[65:66], null, s20, v70, 0
	v_mov_b32_e32 v49, v51
	v_mov_b32_e32 v51, v64
	v_add_co_u32 v40, s0, v59, v40
	v_mov_b32_e32 v62, v48
	v_add_co_ci_u32_e64 v41, s0, v60, v41, s0
	v_mad_u64_u32 v[67:68], null, s21, v58, v[49:50]
	v_mad_u64_u32 v[68:69], null, s21, v69, v[51:52]
	v_mov_b32_e32 v51, v66
	v_add_co_u32 v48, s0, v59, v56
	v_add_co_ci_u32_e64 v49, s0, v60, v57, s0
	v_lshlrev_b64 v[56:57], 2, v[61:62]
	v_mad_u64_u32 v[61:62], null, s21, v70, v[51:52]
	v_mov_b32_e32 v64, v68
	v_add_nc_u32_e32 v69, 0x89d, v52
	v_mov_b32_e32 v51, v67
	v_add_co_u32 v70, s0, v59, v56
	v_add_nc_u32_e32 v56, 0xc4, v52
	v_add_co_ci_u32_e64 v71, s0, v60, v57, s0
	v_mov_b32_e32 v66, v61
	v_lshlrev_b64 v[57:58], 2, v[63:64]
	v_mad_u64_u32 v[61:62], null, s20, v69, 0
	v_mad_u64_u32 v[63:64], null, s20, v56, 0
	;; [unrolled: 1-line block ×3, first 2 shown]
	v_add_co_u32 v72, s0, v59, v57
	v_add_co_ci_u32_e64 v73, s0, v60, v58, s0
	v_mov_b32_e32 v57, v62
	v_mov_b32_e32 v58, v64
	v_add_nc_u32_e32 v80, 0x372, v52
	v_lshlrev_b64 v[65:66], 2, v[65:66]
	v_add_nc_u32_e32 v85, 0x620, v52
	v_add_nc_u32_e32 v93, 0x3a3, v52
	v_mad_u64_u32 v[74:75], null, s21, v69, v[57:58]
	v_mad_u64_u32 v[57:58], null, s21, v56, v[58:59]
	;; [unrolled: 1-line block ×3, first 2 shown]
	v_mov_b32_e32 v58, v68
	v_add_co_u32 v77, s0, v59, v65
	v_add_co_ci_u32_e64 v78, s0, v60, v66, s0
	v_mad_u64_u32 v[65:66], null, s21, v79, v[58:59]
	v_mov_b32_e32 v62, v74
	v_mov_b32_e32 v58, v76
	v_add_nc_u32_e32 v69, 0x4c9, v52
	v_mov_b32_e32 v64, v57
	v_add_nc_u32_e32 v104, 0x8ff, v52
	v_lshlrev_b64 v[61:62], 2, v[61:62]
	v_mad_u64_u32 v[57:58], null, s21, v80, v[58:59]
	v_mov_b32_e32 v68, v65
	v_mad_u64_u32 v[65:66], null, s20, v69, 0
	v_add_co_u32 v79, s0, v59, v61
	v_add_co_ci_u32_e64 v80, s0, v60, v62, s0
	v_lshlrev_b64 v[61:62], 2, v[67:68]
	v_mov_b32_e32 v76, v57
	v_mov_b32_e32 v57, v66
	v_mad_u64_u32 v[67:68], null, s20, v85, 0
	v_lshlrev_b64 v[63:64], 2, v[63:64]
	v_mad_u64_u32 v[57:58], null, s21, v69, v[57:58]
	v_add_nc_u32_e32 v69, 0x8ce, v52
	v_add_co_u32 v81, s0, v59, v63
	v_mov_b32_e32 v58, v68
	v_add_co_ci_u32_e64 v82, s0, v60, v64, s0
	v_lshlrev_b64 v[63:64], 2, v[75:76]
	v_add_co_u32 v83, s0, v59, v61
	v_mov_b32_e32 v66, v57
	v_mad_u64_u32 v[57:58], null, s21, v85, v[58:59]
	v_add_nc_u32_e32 v76, 0x777, v52
	v_add_co_ci_u32_e64 v84, s0, v60, v62, s0
	v_add_co_u32 v85, s0, v59, v63
	v_add_co_ci_u32_e64 v86, s0, v60, v64, s0
	v_lshlrev_b64 v[63:64], 2, v[65:66]
	v_mad_u64_u32 v[74:75], null, s20, v76, 0
	v_mov_b32_e32 v68, v57
	v_mad_u64_u32 v[61:62], null, s20, v69, 0
	v_add_co_u32 v87, s0, v59, v63
	v_add_co_ci_u32_e64 v88, s0, v60, v64, s0
	v_lshlrev_b64 v[63:64], 2, v[67:68]
	v_mov_b32_e32 v58, v75
	v_mad_u64_u32 v[65:66], null, s21, v69, v[62:63]
	v_mad_u64_u32 v[57:58], null, s21, v76, v[58:59]
	v_add_nc_u32_e32 v58, 0xf5, v52
	v_add_co_u32 v89, s0, v59, v63
	v_add_co_ci_u32_e64 v90, s0, v60, v64, s0
	v_mad_u64_u32 v[66:67], null, s20, v58, 0
	v_mov_b32_e32 v62, v65
	v_add_nc_u32_e32 v65, 0x24c, v52
	v_mov_b32_e32 v75, v57
	v_lshlrev_b64 v[61:62], 2, v[61:62]
	v_mad_u64_u32 v[68:69], null, s20, v65, 0
	v_mov_b32_e32 v57, v67
	v_lshlrev_b64 v[63:64], 2, v[74:75]
	v_mad_u64_u32 v[74:75], null, s21, v58, v[57:58]
	v_mad_u64_u32 v[75:76], null, s20, v93, 0
	v_mov_b32_e32 v57, v69
	v_add_co_u32 v91, s0, v59, v63
	v_add_co_ci_u32_e64 v92, s0, v60, v64, s0
	v_mad_u64_u32 v[64:65], null, s21, v65, v[57:58]
	v_mov_b32_e32 v63, v76
	v_mov_b32_e32 v67, v74
	v_add_nc_u32_e32 v74, 0x4fa, v52
	v_add_co_u32 v96, s0, v59, v61
	v_add_co_ci_u32_e64 v97, s0, v60, v62, s0
	v_mad_u64_u32 v[93:94], null, s21, v93, v[63:64]
	v_mad_u64_u32 v[94:95], null, s20, v74, 0
	v_mov_b32_e32 v69, v64
	v_lshlrev_b64 v[65:66], 2, v[66:67]
	v_mov_b32_e32 v76, v93
	v_lshlrev_b64 v[61:62], 2, v[68:69]
	v_add_nc_u32_e32 v68, 0x7a8, v52
	v_mov_b32_e32 v57, v95
	v_add_co_u32 v98, s0, v59, v65
	v_add_co_ci_u32_e64 v99, s0, v60, v66, s0
	v_mad_u64_u32 v[66:67], null, s20, v68, 0
	v_mad_u64_u32 v[63:64], null, s21, v74, v[57:58]
	v_lshlrev_b64 v[64:65], 2, v[75:76]
	v_add_co_u32 v74, s0, v59, v61
	v_add_nc_u32_e32 v76, 0x651, v52
	v_mov_b32_e32 v57, v67
	v_add_co_ci_u32_e64 v75, s0, v60, v62, s0
	v_mov_b32_e32 v95, v63
	v_add_co_u32 v100, s0, v59, v64
	v_mad_u64_u32 v[63:64], null, s21, v68, v[57:58]
	v_add_co_ci_u32_e64 v101, s0, v60, v65, s0
	v_lshlrev_b64 v[61:62], 2, v[94:95]
	v_mad_u64_u32 v[93:94], null, s20, v76, 0
	v_mad_u64_u32 v[64:65], null, s20, v104, 0
	v_add_nc_u32_e32 v57, 0x126, v52
	v_add_co_u32 v102, s0, v59, v61
	v_add_co_ci_u32_e64 v103, s0, v60, v62, s0
	v_mad_u64_u32 v[68:69], null, s20, v57, 0
	v_mov_b32_e32 v61, v94
	v_mov_b32_e32 v62, v65
	;; [unrolled: 1-line block ×3, first 2 shown]
	v_mad_u64_u32 v[94:95], null, s21, v76, v[61:62]
	v_mad_u64_u32 v[61:62], null, s21, v104, v[62:63]
	v_mov_b32_e32 v62, v69
	v_add_nc_u32_e32 v76, 0x27d, v52
	v_lshlrev_b64 v[66:67], 2, v[66:67]
	v_add_nc_u32_e32 v95, 0x3d4, v52
	v_mad_u64_u32 v[62:63], null, s21, v57, v[62:63]
	v_mad_u64_u32 v[104:105], null, s20, v76, 0
	v_mov_b32_e32 v65, v61
	v_add_co_u32 v106, s0, v59, v66
	v_add_co_ci_u32_e64 v107, s0, v60, v67, s0
	v_mov_b32_e32 v69, v62
	v_lshlrev_b64 v[62:63], 2, v[64:65]
	v_mov_b32_e32 v61, v105
	v_mad_u64_u32 v[64:65], null, s21, v76, v[61:62]
	v_mad_u64_u32 v[65:66], null, s20, v95, 0
	v_add_co_u32 v108, s0, v59, v62
	v_add_co_ci_u32_e64 v109, s0, v60, v63, s0
	v_lshlrev_b64 v[61:62], 2, v[68:69]
	v_add_nc_u32_e32 v69, 0x52b, v52
	v_mov_b32_e32 v63, v66
	v_mov_b32_e32 v105, v64
	v_add_nc_u32_e32 v76, 0x682, v52
	v_mad_u64_u32 v[67:68], null, s20, v69, 0
	v_mad_u64_u32 v[63:64], null, s21, v95, v[63:64]
	v_add_co_u32 v112, s0, v59, v61
	v_add_co_ci_u32_e64 v113, s0, v60, v62, s0
	v_mov_b32_e32 v61, v68
	v_mad_u64_u32 v[110:111], null, s20, v76, 0
	v_mov_b32_e32 v66, v63
	v_lshlrev_b64 v[62:63], 2, v[104:105]
	v_add_nc_u32_e32 v95, 0x930, v52
	v_mov_b32_e32 v64, v111
	v_mad_u64_u32 v[68:69], null, s21, v69, v[61:62]
	v_add_nc_u32_e32 v69, 0x7d9, v52
	v_mad_u64_u32 v[116:117], null, s20, v95, 0
	v_add_co_u32 v118, s0, v59, v62
	v_mad_u64_u32 v[114:115], null, s20, v69, 0
	v_mad_u64_u32 v[104:105], null, s21, v76, v[64:65]
	v_add_co_ci_u32_e64 v119, s0, v60, v63, s0
	v_mov_b32_e32 v64, v117
	v_lshlrev_b64 v[61:62], 2, v[65:66]
	v_mov_b32_e32 v63, v115
	v_lshlrev_b64 v[65:66], 2, v[67:68]
	v_mov_b32_e32 v111, v104
	v_mad_u64_u32 v[67:68], null, s21, v69, v[63:64]
	v_mad_u64_u32 v[63:64], null, s21, v95, v[64:65]
	v_add_co_u32 v104, s0, v59, v61
	v_add_co_ci_u32_e64 v105, s0, v60, v62, s0
	v_lshlrev_b64 v[61:62], 2, v[110:111]
	v_mov_b32_e32 v115, v67
	v_add_co_u32 v110, s0, v59, v65
	v_mov_b32_e32 v117, v63
	v_add_co_ci_u32_e64 v111, s0, v60, v66, s0
	v_lshlrev_b64 v[63:64], 2, v[114:115]
	v_add_co_u32 v114, s0, v59, v61
	v_add_co_ci_u32_e64 v115, s0, v60, v62, s0
	v_lshlrev_b64 v[61:62], 2, v[116:117]
	v_add_co_u32 v116, s0, v59, v63
	v_add_co_ci_u32_e64 v117, s0, v60, v64, s0
	v_add_co_u32 v120, s0, v59, v61
	v_add_co_ci_u32_e64 v121, s0, v60, v62, s0
	s_clause 0x1c
	global_load_dword v65, v[0:1], off
	global_load_dword v66, v[2:3], off
	;; [unrolled: 1-line block ×29, first 2 shown]
	v_lshlrev_b64 v[0:1], 2, v[50:51]
	v_lshlrev_b64 v[26:27], 2, v[93:94]
	s_clause 0xd
	global_load_dword v51, v[106:107], off
	global_load_dword v11, v[108:109], off
	;; [unrolled: 1-line block ×14, first 2 shown]
	v_add_co_u32 v0, s0, v59, v0
	v_add_co_ci_u32_e64 v1, s0, v60, v1, s0
	v_add_co_u32 v26, s0, v59, v26
	v_add_co_ci_u32_e64 v27, s0, v60, v27, s0
	s_clause 0x5
	global_load_dword v39, v[28:29], off
	global_load_dword v42, v[32:33], off
	;; [unrolled: 1-line block ×6, first 2 shown]
	s_waitcnt vmcnt(43)
	v_lshrrev_b32_e32 v49, 16, v76
	s_waitcnt vmcnt(42)
	v_perm_b32 v71, v68, v2, 0x7060302
	s_waitcnt vmcnt(36)
	v_lshrrev_b32_e32 v48, 16, v122
	v_perm_b32 v26, v122, v95, 0x5040100
	s_waitcnt vmcnt(31)
	v_lshrrev_b32_e32 v45, 16, v43
	s_waitcnt vmcnt(19)
	v_lshrrev_b32_e32 v32, 16, v51
	v_perm_b32 v43, v43, v35, 0x5040100
	v_lshrrev_b32_e32 v38, 16, v64
	v_perm_b32 v60, v64, v62, 0x5040100
	;; [unrolled: 2-line block ×3, first 2 shown]
	s_waitcnt vmcnt(12)
	v_lshrrev_b32_e32 v33, 16, v14
	v_perm_b32 v14, v14, v20, 0x5040100
	s_waitcnt vmcnt(11)
	v_perm_b32 v20, v10, v20, 0x7060302
	v_perm_b32 v28, v51, v47, 0x5040100
	;; [unrolled: 1-line block ×3, first 2 shown]
	s_waitcnt vmcnt(10)
	v_perm_b32 v62, v36, v62, 0x7060302
	s_waitcnt vmcnt(6)
	v_perm_b32 v46, v46, v70, 0x5040100
	v_perm_b32 v47, v9, v70, 0x7060302
	;; [unrolled: 1-line block ×4, first 2 shown]
.LBB0_13:
	s_or_b32 exec_lo, exec_lo, s1
	v_add_f16_e32 v84, v9, v34
	v_sub_f16_e32 v85, v34, v9
	v_perm_b32 v9, v67, v5, 0x5040100
	v_perm_b32 v5, v66, v5, 0x7060302
	v_add_f16_e32 v1, v68, v66
	v_sub_f16_e32 v2, v66, v68
	v_add_f16_sdwa v68, v49, v67 dst_sel:DWORD dst_unused:UNUSED_PAD src0_sel:DWORD src1_sel:WORD_1
	v_sub_f16_sdwa v72, v67, v49 dst_sel:DWORD dst_unused:UNUSED_PAD src0_sel:WORD_1 src1_sel:DWORD
	v_add_f16_sdwa v74, v48, v6 dst_sel:DWORD dst_unused:UNUSED_PAD src0_sel:DWORD src1_sel:WORD_1
	v_sub_f16_sdwa v75, v6, v48 dst_sel:DWORD dst_unused:UNUSED_PAD src0_sel:WORD_1 src1_sel:DWORD
	;; [unrolled: 2-line block ×3, first 2 shown]
	v_add_f16_e32 v59, v11, v22
	v_sub_f16_e32 v48, v22, v11
	v_add_f16_sdwa v51, v32, v25 dst_sel:DWORD dst_unused:UNUSED_PAD src0_sel:DWORD src1_sel:WORD_1
	v_sub_f16_sdwa v49, v25, v32 dst_sel:DWORD dst_unused:UNUSED_PAD src0_sel:WORD_1 src1_sel:DWORD
	v_add_f16_e32 v37, v10, v4
	v_sub_f16_e32 v32, v4, v10
	v_pk_add_f16 v10, v70, v9
	v_pk_add_f16 v11, v71, v5
	s_waitcnt vmcnt(4)
	v_add_f16_e32 v76, v12, v42
	v_sub_f16_e32 v77, v42, v12
	s_waitcnt vmcnt(2)
	v_add_f16_e32 v80, v36, v41
	v_sub_f16_e32 v81, v41, v36
	s_waitcnt vmcnt(1)
	v_add_f16_sdwa v82, v38, v40 dst_sel:DWORD dst_unused:UNUSED_PAD src0_sel:DWORD src1_sel:WORD_1
	v_sub_f16_sdwa v83, v40, v38 dst_sel:DWORD dst_unused:UNUSED_PAD src0_sel:WORD_1 src1_sel:DWORD
	v_pk_add_f16 v5, v5, v71 neg_lo:[0,1] neg_hi:[0,1]
	v_add_f16_sdwa v12, v1, v10 dst_sel:DWORD dst_unused:UNUSED_PAD src0_sel:DWORD src1_sel:WORD_1
	v_alignbit_b32 v36, v1, v10, 16
	v_add_f16_sdwa v38, v11, v68 dst_sel:DWORD dst_unused:UNUSED_PAD src0_sel:WORD_1 src1_sel:DWORD
	v_pk_add_f16 v9, v9, v70 neg_lo:[0,1] neg_hi:[0,1]
	v_sub_f16_sdwa v66, v68, v11 dst_sel:DWORD dst_unused:UNUSED_PAD src0_sel:DWORD src1_sel:WORD_1
	v_sub_f16_e32 v67, v1, v10
	v_sub_f16_sdwa v70, v11, v11 dst_sel:DWORD dst_unused:UNUSED_PAD src0_sel:WORD_1 src1_sel:DWORD
	v_pk_add_f16 v36, v10, v36 neg_lo:[0,1] neg_hi:[0,1]
	v_sub_f16_e32 v68, v11, v68
	v_pack_b32_f16 v1, v72, v5
	v_add_f16_e32 v10, v12, v10
	v_add_f16_e32 v11, v38, v11
	v_add_f16_sdwa v71, v9, v9 dst_sel:DWORD dst_unused:UNUSED_PAD src0_sel:WORD_1 src1_sel:DWORD
	v_add_f16_e32 v88, v72, v5
	v_sub_f16_sdwa v89, v9, v9 dst_sel:DWORD dst_unused:UNUSED_PAD src0_sel:DWORD src1_sel:WORD_1
	v_sub_f16_e32 v90, v2, v9
	v_pk_add_f16 v91, v5, v1 neg_lo:[0,1] neg_hi:[0,1]
	v_sub_f16_sdwa v9, v9, v2 dst_sel:DWORD dst_unused:UNUSED_PAD src0_sel:WORD_1 src1_sel:DWORD
	v_sub_f16_sdwa v12, v72, v5 dst_sel:DWORD dst_unused:UNUSED_PAD src0_sel:DWORD src1_sel:WORD_1
	v_add_f16_e32 v38, v10, v65
	v_add_f16_sdwa v1, v11, v65 dst_sel:DWORD dst_unused:UNUSED_PAD src0_sel:DWORD src1_sel:WORD_1
	v_mul_f16_e32 v65, 0xba52, v67
	v_pk_mul_f16 v72, 0x39e02b26, v36
	v_add_f16_e32 v2, v2, v71
	v_add_f16_sdwa v5, v5, v88 dst_sel:DWORD dst_unused:UNUSED_PAD src0_sel:WORD_1 src1_sel:DWORD
	v_mul_f16_e32 v71, 0x3a52, v70
	v_mul_f16_e32 v68, 0x2b26, v68
	;; [unrolled: 1-line block ×3, first 2 shown]
	v_pk_mul_f16 v92, 0x3574b846, v91
	v_mul_f16_e32 v93, 0x3b00, v9
	v_mul_f16_e32 v12, 0x3b00, v12
	v_alignbit_b32 v65, v65, v72, 16
	v_mul_f16_e32 v88, 0x370e, v5
	v_fmamk_f16 v10, v10, 0xbcab, v38
	v_fmamk_f16 v11, v11, 0xbcab, v1
	;; [unrolled: 1-line block ×4, first 2 shown]
	v_fma_f16 v68, v66, 0x39e0, -v68
	v_pk_fma_f16 v36, 0x39e02b26, v36, v65 neg_lo:[0,1,0] neg_hi:[0,1,0]
	v_fma_f16 v65, v66, 0xb9e0, -v71
	v_fmamk_f16 v71, v90, 0x3574, v89
	v_add_f16_sdwa v72, v92, v92 dst_sel:DWORD dst_unused:UNUSED_PAD src0_sel:WORD_1 src1_sel:DWORD
	v_fma_f16 v66, v9, 0x3b00, -v89
	v_fma_f16 v89, v90, 0xb574, -v93
	v_pk_fma_f16 v9, 0x3574b846, v91, v12 op_sel_hi:[1,1,0] neg_lo:[0,1,0] neg_hi:[0,1,1]
	v_add_f16_e32 v90, v67, v10
	v_add_f16_e32 v12, v68, v11
	v_pk_add_f16 v10, v36, v10 op_sel_hi:[1,0]
	v_add_f16_e32 v36, v65, v11
	v_fmac_f16_e32 v72, 0x370e, v5
	v_pk_add_f16 v9, v9, v88 op_sel_hi:[1,0]
	v_fmac_f16_e32 v66, 0x370e, v2
	v_fmac_f16_e32 v89, 0x370e, v2
	v_add_f16_e32 v70, v70, v11
	v_fmac_f16_e32 v71, 0x370e, v2
	v_add_f16_e32 v2, v90, v72
	v_pk_add_f16 v65, v10, v9
	v_pk_add_f16 v68, v10, v9 neg_lo:[0,1] neg_hi:[0,1]
	v_sub_f16_e32 v9, v36, v89
	v_add_f16_e32 v10, v66, v12
	v_sub_f16_e32 v11, v12, v66
	v_add_f16_e32 v12, v89, v36
	v_perm_b32 v36, v6, v24, 0x5040100
	v_add_f16_e32 v73, v69, v63
	v_bfi_b32 v67, 0xffff, v65, v68
	v_alignbit_b32 v66, v68, v65, 16
	v_pack_b32_f16 v65, v38, v2
	v_perm_b32 v24, v63, v24, 0x7060302
	v_pk_add_f16 v38, v26, v36
	v_sub_f16_e32 v69, v63, v69
	v_mad_u32_u24 v0, v52, 14, 0
	v_pk_add_f16 v26, v36, v26 neg_lo:[0,1] neg_hi:[0,1]
	v_pk_add_f16 v63, v35, v24
	v_pk_add_f16 v24, v24, v35 neg_lo:[0,1] neg_hi:[0,1]
	v_alignbit_b32 v36, v73, v38, 16
	v_sub_f16_e32 v2, v90, v72
	s_load_dwordx2 s[0:1], s[4:5], 0x0
	v_sub_f16_e32 v5, v70, v71
	v_add_f16_e32 v6, v71, v70
	ds_write_b96 v0, v[65:67]
	ds_write_b16 v0, v2 offset:12
	v_add_f16_sdwa v35, v73, v38 dst_sel:DWORD dst_unused:UNUSED_PAD src0_sel:DWORD src1_sel:WORD_1
	v_add_f16_sdwa v65, v63, v74 dst_sel:DWORD dst_unused:UNUSED_PAD src0_sel:WORD_1 src1_sel:DWORD
	v_sub_f16_e32 v67, v73, v38
	v_pk_add_f16 v36, v38, v36 neg_lo:[0,1] neg_hi:[0,1]
	v_pack_b32_f16 v71, v75, v24
	v_add_f16_sdwa v72, v26, v26 dst_sel:DWORD dst_unused:UNUSED_PAD src0_sel:WORD_1 src1_sel:DWORD
	v_sub_f16_sdwa v66, v74, v63 dst_sel:DWORD dst_unused:UNUSED_PAD src0_sel:DWORD src1_sel:WORD_1
	v_sub_f16_sdwa v68, v63, v63 dst_sel:DWORD dst_unused:UNUSED_PAD src0_sel:WORD_1 src1_sel:DWORD
	v_sub_f16_e32 v70, v63, v74
	v_add_f16_e32 v73, v75, v24
	v_sub_f16_sdwa v74, v26, v26 dst_sel:DWORD dst_unused:UNUSED_PAD src0_sel:DWORD src1_sel:WORD_1
	v_pk_add_f16 v71, v24, v71 neg_lo:[0,1] neg_hi:[0,1]
	v_add_f16_e32 v35, v35, v38
	v_add_f16_e32 v38, v65, v63
	v_sub_f16_sdwa v63, v75, v24 dst_sel:DWORD dst_unused:UNUSED_PAD src0_sel:DWORD src1_sel:WORD_1
	v_add_f16_e32 v65, v69, v72
	v_mul_f16_e32 v72, 0xba52, v67
	v_pk_mul_f16 v75, 0x39e02b26, v36
	v_sub_f16_e32 v88, v69, v26
	v_sub_f16_sdwa v26, v26, v69 dst_sel:DWORD dst_unused:UNUSED_PAD src0_sel:WORD_1 src1_sel:DWORD
	v_add_f16_sdwa v24, v24, v73 dst_sel:DWORD dst_unused:UNUSED_PAD src0_sel:WORD_1 src1_sel:DWORD
	v_add_f16_e32 v69, v35, v15
	v_mul_f16_e32 v73, 0x3a52, v68
	v_mul_f16_e32 v70, 0x2b26, v70
	;; [unrolled: 1-line block ×3, first 2 shown]
	v_pk_mul_f16 v90, 0x3574b846, v71
	v_mul_f16_e32 v63, 0x3b00, v63
	v_alignbit_b32 v72, v72, v75, 16
	v_add_f16_sdwa v15, v38, v15 dst_sel:DWORD dst_unused:UNUSED_PAD src0_sel:DWORD src1_sel:WORD_1
	v_mul_f16_e32 v89, 0x370e, v24
	v_mul_f16_e32 v91, 0x3b00, v26
	v_fmamk_f16 v35, v35, 0xbcab, v69
	v_fmamk_f16 v67, v67, 0x3a52, v75
	;; [unrolled: 1-line block ×3, first 2 shown]
	v_fma_f16 v70, v66, 0x39e0, -v70
	v_pk_fma_f16 v36, 0x39e02b26, v36, v72 neg_lo:[0,1,0] neg_hi:[0,1,0]
	v_fma_f16 v66, v66, 0xb9e0, -v73
	v_fmamk_f16 v72, v88, 0x3574, v74
	v_add_f16_sdwa v73, v90, v90 dst_sel:DWORD dst_unused:UNUSED_PAD src0_sel:WORD_1 src1_sel:DWORD
	v_fma_f16 v74, v26, 0x3b00, -v74
	v_pk_fma_f16 v26, 0x3574b846, v71, v63 op_sel_hi:[1,1,0] neg_lo:[0,1,0] neg_hi:[0,1,1]
	v_fmamk_f16 v38, v38, 0xbcab, v15
	v_fma_f16 v75, v88, 0xb574, -v91
	v_add_f16_e32 v63, v67, v35
	v_pk_add_f16 v35, v36, v35 op_sel_hi:[1,0]
	v_fmac_f16_e32 v73, 0x370e, v24
	v_pk_add_f16 v26, v26, v89 op_sel_hi:[1,0]
	v_add_f16_e32 v68, v68, v38
	v_add_f16_e32 v67, v70, v38
	;; [unrolled: 1-line block ×3, first 2 shown]
	v_fmac_f16_e32 v72, 0x370e, v65
	v_fmac_f16_e32 v74, 0x370e, v65
	;; [unrolled: 1-line block ×3, first 2 shown]
	v_add_f16_e32 v65, v63, v73
	v_pk_add_f16 v66, v35, v26
	v_pk_add_f16 v70, v35, v26 neg_lo:[0,1] neg_hi:[0,1]
	v_mad_i32_i24 v2, v53, 14, 0
	v_add_f16_e32 v35, v74, v67
	v_sub_f16_e32 v36, v67, v74
	v_pack_b32_f16 v65, v69, v65
	v_bfi_b32 v67, 0xffff, v66, v70
	v_alignbit_b32 v66, v70, v66, 16
	v_perm_b32 v69, v23, v21, 0x5040100
	v_sub_f16_e32 v63, v63, v73
	v_perm_b32 v42, v42, v21, 0x7060302
	ds_write_b96 v2, v[65:67]
	ds_write_b16 v2, v63 offset:12
	v_pk_add_f16 v63, v43, v69
	v_add_f16_sdwa v78, v45, v23 dst_sel:DWORD dst_unused:UNUSED_PAD src0_sel:DWORD src1_sel:WORD_1
	v_sub_f16_sdwa v79, v23, v45 dst_sel:DWORD dst_unused:UNUSED_PAD src0_sel:WORD_1 src1_sel:DWORD
	v_pk_add_f16 v65, v64, v42
	v_pk_add_f16 v42, v42, v64 neg_lo:[0,1] neg_hi:[0,1]
	v_alignbit_b32 v66, v76, v63, 16
	v_sub_f16_e32 v24, v68, v72
	v_add_f16_e32 v23, v72, v68
	v_pk_add_f16 v43, v69, v43 neg_lo:[0,1] neg_hi:[0,1]
	v_add_f16_sdwa v64, v76, v63 dst_sel:DWORD dst_unused:UNUSED_PAD src0_sel:DWORD src1_sel:WORD_1
	v_add_f16_sdwa v67, v65, v78 dst_sel:DWORD dst_unused:UNUSED_PAD src0_sel:WORD_1 src1_sel:DWORD
	v_sub_f16_e32 v69, v76, v63
	v_pk_add_f16 v66, v63, v66 neg_lo:[0,1] neg_hi:[0,1]
	v_pack_b32_f16 v72, v79, v42
	v_add_f16_e32 v74, v79, v42
	v_sub_f16_e32 v26, v38, v75
	v_add_f16_e32 v38, v75, v38
	v_sub_f16_sdwa v68, v78, v65 dst_sel:DWORD dst_unused:UNUSED_PAD src0_sel:DWORD src1_sel:WORD_1
	v_sub_f16_sdwa v70, v65, v65 dst_sel:DWORD dst_unused:UNUSED_PAD src0_sel:WORD_1 src1_sel:DWORD
	v_sub_f16_e32 v71, v65, v78
	v_add_f16_sdwa v73, v43, v43 dst_sel:DWORD dst_unused:UNUSED_PAD src0_sel:WORD_1 src1_sel:DWORD
	v_sub_f16_sdwa v75, v43, v43 dst_sel:DWORD dst_unused:UNUSED_PAD src0_sel:DWORD src1_sel:WORD_1
	v_pk_add_f16 v72, v42, v72 neg_lo:[0,1] neg_hi:[0,1]
	v_add_f16_e32 v63, v64, v63
	v_add_f16_e32 v64, v67, v65
	v_sub_f16_sdwa v65, v79, v42 dst_sel:DWORD dst_unused:UNUSED_PAD src0_sel:DWORD src1_sel:WORD_1
	v_add_f16_sdwa v42, v42, v74 dst_sel:DWORD dst_unused:UNUSED_PAD src0_sel:WORD_1 src1_sel:DWORD
	v_mul_f16_e32 v74, 0xba52, v69
	v_pk_mul_f16 v78, 0x39e02b26, v66
	v_sub_f16_e32 v76, v77, v43
	v_sub_f16_sdwa v43, v43, v77 dst_sel:DWORD dst_unused:UNUSED_PAD src0_sel:WORD_1 src1_sel:DWORD
	v_add_f16_e32 v67, v77, v73
	v_add_f16_e32 v73, v63, v39
	v_mul_f16_e32 v77, 0x3a52, v70
	v_mul_f16_e32 v71, 0x2b26, v71
	;; [unrolled: 1-line block ×3, first 2 shown]
	v_pk_mul_f16 v88, 0x3574b846, v72
	v_mul_f16_e32 v65, 0x3b00, v65
	v_alignbit_b32 v74, v74, v78, 16
	v_add_f16_sdwa v39, v64, v39 dst_sel:DWORD dst_unused:UNUSED_PAD src0_sel:DWORD src1_sel:WORD_1
	v_mul_f16_e32 v79, 0x370e, v42
	v_mul_f16_e32 v89, 0x3b00, v43
	v_fmamk_f16 v63, v63, 0xbcab, v73
	v_fmamk_f16 v69, v69, 0x3a52, v78
	;; [unrolled: 1-line block ×3, first 2 shown]
	v_fma_f16 v71, v68, 0x39e0, -v71
	v_pk_fma_f16 v66, 0x39e02b26, v66, v74 neg_lo:[0,1,0] neg_hi:[0,1,0]
	v_fma_f16 v68, v68, 0xb9e0, -v77
	v_fmamk_f16 v74, v76, 0x3574, v75
	v_add_f16_sdwa v77, v88, v88 dst_sel:DWORD dst_unused:UNUSED_PAD src0_sel:WORD_1 src1_sel:DWORD
	v_fma_f16 v75, v43, 0x3b00, -v75
	v_pk_fma_f16 v43, 0x3574b846, v72, v65 op_sel_hi:[1,1,0] neg_lo:[0,1,0] neg_hi:[0,1,1]
	v_fmamk_f16 v64, v64, 0xbcab, v39
	v_fma_f16 v76, v76, 0xb574, -v89
	v_add_f16_e32 v69, v69, v63
	v_pk_add_f16 v63, v66, v63 op_sel_hi:[1,0]
	v_fmac_f16_e32 v77, 0x370e, v42
	v_pk_add_f16 v43, v43, v79 op_sel_hi:[1,0]
	v_add_f16_e32 v70, v70, v64
	v_add_f16_e32 v65, v71, v64
	;; [unrolled: 1-line block ×3, first 2 shown]
	v_fmac_f16_e32 v74, 0x370e, v67
	v_fmac_f16_e32 v75, 0x370e, v67
	;; [unrolled: 1-line block ×3, first 2 shown]
	v_add_f16_e32 v66, v69, v77
	v_pk_add_f16 v67, v63, v43
	v_pk_add_f16 v63, v63, v43 neg_lo:[0,1] neg_hi:[0,1]
	v_mad_i32_i24 v21, v54, 14, 0
	v_sub_f16_e32 v43, v64, v76
	v_add_f16_e32 v97, v75, v65
	v_sub_f16_e32 v98, v65, v75
	v_add_f16_e32 v99, v76, v64
	v_bfi_b32 v65, 0xffff, v67, v63
	v_alignbit_b32 v64, v63, v67, 16
	v_pack_b32_f16 v63, v73, v66
	v_perm_b32 v67, v40, v61, 0x5040100
	v_perm_b32 v61, v41, v61, 0x7060302
	v_sub_f16_e32 v66, v69, v77
	ds_write_b96 v21, v[63:65]
	ds_write_b16 v21, v66 offset:12
	v_pk_add_f16 v63, v60, v67
	v_pk_add_f16 v64, v62, v61
	v_pk_add_f16 v60, v67, v60 neg_lo:[0,1] neg_hi:[0,1]
	v_pk_add_f16 v61, v61, v62 neg_lo:[0,1] neg_hi:[0,1]
	v_sub_f16_e32 v42, v70, v74
	v_add_f16_sdwa v62, v80, v63 dst_sel:DWORD dst_unused:UNUSED_PAD src0_sel:DWORD src1_sel:WORD_1
	v_alignbit_b32 v65, v80, v63, 16
	v_add_f16_sdwa v66, v64, v82 dst_sel:DWORD dst_unused:UNUSED_PAD src0_sel:WORD_1 src1_sel:DWORD
	v_sub_f16_e32 v68, v80, v63
	v_pack_b32_f16 v71, v83, v61
	v_add_f16_sdwa v72, v60, v60 dst_sel:DWORD dst_unused:UNUSED_PAD src0_sel:WORD_1 src1_sel:DWORD
	v_pk_add_f16 v65, v63, v65 neg_lo:[0,1] neg_hi:[0,1]
	v_add_f16_e32 v62, v62, v63
	v_add_f16_e32 v63, v66, v64
	;; [unrolled: 1-line block ×3, first 2 shown]
	v_sub_f16_sdwa v67, v82, v64 dst_sel:DWORD dst_unused:UNUSED_PAD src0_sel:DWORD src1_sel:WORD_1
	v_sub_f16_sdwa v69, v64, v64 dst_sel:DWORD dst_unused:UNUSED_PAD src0_sel:WORD_1 src1_sel:DWORD
	v_sub_f16_e32 v70, v64, v82
	v_add_f16_e32 v73, v83, v61
	v_pk_add_f16 v71, v61, v71 neg_lo:[0,1] neg_hi:[0,1]
	v_sub_f16_sdwa v64, v83, v61 dst_sel:DWORD dst_unused:UNUSED_PAD src0_sel:DWORD src1_sel:WORD_1
	v_add_f16_e32 v66, v81, v72
	v_add_f16_e32 v72, v62, v50
	v_add_f16_sdwa v101, v63, v50 dst_sel:DWORD dst_unused:UNUSED_PAD src0_sel:DWORD src1_sel:WORD_1
	v_mul_f16_e32 v50, 0xba52, v68
	v_pk_mul_f16 v76, 0x39e02b26, v65
	v_sub_f16_sdwa v74, v60, v60 dst_sel:DWORD dst_unused:UNUSED_PAD src0_sel:DWORD src1_sel:WORD_1
	v_sub_f16_e32 v75, v81, v60
	v_sub_f16_sdwa v60, v60, v81 dst_sel:DWORD dst_unused:UNUSED_PAD src0_sel:WORD_1 src1_sel:DWORD
	v_add_f16_sdwa v61, v61, v73 dst_sel:DWORD dst_unused:UNUSED_PAD src0_sel:WORD_1 src1_sel:DWORD
	v_mul_f16_e32 v73, 0x3a52, v69
	v_pk_mul_f16 v78, 0x3574b846, v71
	v_mul_f16_e32 v64, 0x3b00, v64
	v_alignbit_b32 v50, v50, v76, 16
	v_mul_f16_e32 v70, 0x2b26, v70
	v_mul_f16_e32 v77, 0x370e, v61
	v_mul_f16_e32 v74, 0xb846, v74
	v_mul_f16_e32 v79, 0x3b00, v60
	v_fmamk_f16 v62, v62, 0xbcab, v72
	v_fmamk_f16 v68, v68, 0x3a52, v76
	v_pk_fma_f16 v50, 0x39e02b26, v65, v50 neg_lo:[0,1,0] neg_hi:[0,1,0]
	v_fma_f16 v65, v67, 0xb9e0, -v73
	v_add_f16_sdwa v73, v78, v78 dst_sel:DWORD dst_unused:UNUSED_PAD src0_sel:WORD_1 src1_sel:DWORD
	v_pk_fma_f16 v64, 0x3574b846, v71, v64 op_sel_hi:[1,1,0] neg_lo:[0,1,0] neg_hi:[0,1,1]
	v_fmamk_f16 v63, v63, 0xbcab, v101
	v_fmamk_f16 v69, v69, 0x3a52, v70
	v_fma_f16 v70, v67, 0x39e0, -v70
	v_fmamk_f16 v67, v75, 0x3574, v74
	v_fma_f16 v60, v60, 0x3b00, -v74
	v_fma_f16 v74, v75, 0xb574, -v79
	v_add_f16_e32 v68, v68, v62
	v_pk_add_f16 v50, v50, v62 op_sel_hi:[1,0]
	v_fmac_f16_e32 v73, 0x370e, v61
	v_pk_add_f16 v61, v64, v77 op_sel_hi:[1,0]
	v_add_f16_e32 v69, v69, v63
	v_add_f16_e32 v70, v70, v63
	;; [unrolled: 1-line block ×3, first 2 shown]
	v_fmac_f16_e32 v60, 0x370e, v66
	v_fmac_f16_e32 v74, 0x370e, v66
	v_add_f16_e32 v63, v68, v73
	v_pk_add_f16 v64, v50, v61
	v_pk_add_f16 v50, v50, v61 neg_lo:[0,1] neg_hi:[0,1]
	v_mad_i32_i24 v41, v55, 14, 0
	v_sub_f16_e32 v105, v62, v74
	v_add_f16_e32 v107, v60, v70
	v_sub_f16_e32 v108, v70, v60
	v_add_f16_e32 v109, v74, v62
	v_bfi_b32 v62, 0xffff, v64, v50
	v_alignbit_b32 v61, v50, v64, 16
	v_pack_b32_f16 v60, v72, v63
	v_perm_b32 v44, v44, v31, 0x5040100
	v_perm_b32 v31, v34, v31, 0x7060302
	v_sub_f16_e32 v50, v68, v73
	ds_write_b96 v41, v[60:62]
	ds_write_b16 v41, v50 offset:12
	v_pk_add_f16 v34, v46, v44
	v_pk_add_f16 v50, v47, v31
	v_pk_add_f16 v44, v44, v46 neg_lo:[0,1] neg_hi:[0,1]
	v_pk_add_f16 v31, v31, v47 neg_lo:[0,1] neg_hi:[0,1]
	v_fmac_f16_e32 v67, 0x370e, v66
	v_add_f16_sdwa v46, v84, v34 dst_sel:DWORD dst_unused:UNUSED_PAD src0_sel:DWORD src1_sel:WORD_1
	v_alignbit_b32 v47, v84, v34, 16
	v_add_f16_sdwa v60, v50, v86 dst_sel:DWORD dst_unused:UNUSED_PAD src0_sel:WORD_1 src1_sel:DWORD
	v_sub_f16_e32 v62, v84, v34
	v_pack_b32_f16 v65, v87, v31
	v_add_f16_sdwa v66, v44, v44 dst_sel:DWORD dst_unused:UNUSED_PAD src0_sel:WORD_1 src1_sel:DWORD
	v_pk_add_f16 v47, v34, v47 neg_lo:[0,1] neg_hi:[0,1]
	v_add_f16_e32 v34, v46, v34
	v_add_f16_e32 v46, v60, v50
	v_sub_f16_e32 v104, v69, v67
	v_add_f16_e32 v106, v67, v69
	v_sub_f16_sdwa v61, v86, v50 dst_sel:DWORD dst_unused:UNUSED_PAD src0_sel:DWORD src1_sel:WORD_1
	v_sub_f16_sdwa v63, v50, v50 dst_sel:DWORD dst_unused:UNUSED_PAD src0_sel:WORD_1 src1_sel:DWORD
	v_sub_f16_e32 v64, v50, v86
	v_add_f16_e32 v67, v87, v31
	v_pk_add_f16 v65, v31, v65 neg_lo:[0,1] neg_hi:[0,1]
	v_sub_f16_sdwa v50, v87, v31 dst_sel:DWORD dst_unused:UNUSED_PAD src0_sel:DWORD src1_sel:WORD_1
	v_add_f16_e32 v60, v85, v66
	v_add_f16_e32 v66, v34, v30
	v_add_f16_sdwa v103, v46, v30 dst_sel:DWORD dst_unused:UNUSED_PAD src0_sel:DWORD src1_sel:WORD_1
	v_mul_f16_e32 v30, 0xba52, v62
	v_pk_mul_f16 v70, 0x39e02b26, v47
	v_sub_f16_sdwa v68, v44, v44 dst_sel:DWORD dst_unused:UNUSED_PAD src0_sel:DWORD src1_sel:WORD_1
	v_sub_f16_e32 v69, v85, v44
	v_sub_f16_sdwa v44, v44, v85 dst_sel:DWORD dst_unused:UNUSED_PAD src0_sel:WORD_1 src1_sel:DWORD
	v_add_f16_sdwa v31, v31, v67 dst_sel:DWORD dst_unused:UNUSED_PAD src0_sel:WORD_1 src1_sel:DWORD
	v_pk_mul_f16 v72, 0x3574b846, v65
	v_mul_f16_e32 v50, 0x3b00, v50
	v_alignbit_b32 v30, v30, v70, 16
	v_mul_f16_e32 v67, 0x3a52, v63
	v_mul_f16_e32 v64, 0x2b26, v64
	;; [unrolled: 1-line block ×5, first 2 shown]
	v_fmamk_f16 v34, v34, 0xbcab, v66
	v_fmamk_f16 v62, v62, 0x3a52, v70
	v_pk_fma_f16 v30, 0x39e02b26, v47, v30 neg_lo:[0,1,0] neg_hi:[0,1,0]
	v_add_f16_sdwa v70, v72, v72 dst_sel:DWORD dst_unused:UNUSED_PAD src0_sel:WORD_1 src1_sel:DWORD
	v_pk_fma_f16 v50, 0x3574b846, v65, v50 op_sel_hi:[1,1,0] neg_lo:[0,1,0] neg_hi:[0,1,1]
	v_fmamk_f16 v46, v46, 0xbcab, v103
	v_fmamk_f16 v63, v63, 0x3a52, v64
	v_fma_f16 v64, v61, 0x39e0, -v64
	v_fma_f16 v47, v61, 0xb9e0, -v67
	;; [unrolled: 1-line block ×4, first 2 shown]
	v_add_f16_e32 v65, v62, v34
	v_pk_add_f16 v30, v30, v34 op_sel_hi:[1,0]
	v_fmac_f16_e32 v70, 0x370e, v31
	v_pk_add_f16 v31, v50, v71 op_sel_hi:[1,0]
	v_fmamk_f16 v67, v69, 0x3574, v68
	v_add_f16_e32 v63, v63, v46
	v_add_f16_e32 v62, v64, v46
	;; [unrolled: 1-line block ×3, first 2 shown]
	v_fmac_f16_e32 v44, 0x370e, v60
	v_fmac_f16_e32 v61, 0x370e, v60
	v_add_f16_e32 v46, v65, v70
	v_pk_add_f16 v47, v30, v31
	v_pk_add_f16 v30, v30, v31 neg_lo:[0,1] neg_hi:[0,1]
	s_waitcnt vmcnt(0)
	v_perm_b32 v25, v25, v27, 0x5040100
	v_mad_i32_i24 v100, v56, 14, 0
	v_fmac_f16_e32 v67, 0x370e, v60
	v_sub_f16_e32 v112, v34, v61
	v_add_f16_e32 v113, v44, v62
	v_sub_f16_e32 v114, v62, v44
	v_add_f16_e32 v115, v61, v34
	v_bfi_b32 v62, 0xffff, v47, v30
	v_alignbit_b32 v61, v30, v47, 16
	v_pack_b32_f16 v60, v66, v46
	v_perm_b32 v22, v22, v27, 0x7060302
	v_pk_add_f16 v27, v28, v25
	v_sub_f16_e32 v30, v65, v70
	ds_write_b96 v100, v[60:62]
	ds_write_b16 v100, v30 offset:12
	v_pk_add_f16 v30, v29, v22
	v_pk_add_f16 v22, v22, v29 neg_lo:[0,1] neg_hi:[0,1]
	v_alignbit_b32 v29, v59, v27, 16
	v_pk_add_f16 v25, v25, v28 neg_lo:[0,1] neg_hi:[0,1]
	v_add_f16_sdwa v28, v59, v27 dst_sel:DWORD dst_unused:UNUSED_PAD src0_sel:DWORD src1_sel:WORD_1
	v_add_f16_sdwa v31, v30, v51 dst_sel:DWORD dst_unused:UNUSED_PAD src0_sel:WORD_1 src1_sel:DWORD
	v_sub_f16_e32 v44, v59, v27
	v_pk_add_f16 v29, v27, v29 neg_lo:[0,1] neg_hi:[0,1]
	v_pack_b32_f16 v50, v49, v22
	v_add_f16_e32 v59, v49, v22
	v_sub_f16_sdwa v34, v51, v30 dst_sel:DWORD dst_unused:UNUSED_PAD src0_sel:DWORD src1_sel:WORD_1
	v_sub_f16_sdwa v46, v30, v30 dst_sel:DWORD dst_unused:UNUSED_PAD src0_sel:WORD_1 src1_sel:DWORD
	v_sub_f16_e32 v47, v30, v51
	v_add_f16_sdwa v51, v25, v25 dst_sel:DWORD dst_unused:UNUSED_PAD src0_sel:WORD_1 src1_sel:DWORD
	v_sub_f16_sdwa v60, v25, v25 dst_sel:DWORD dst_unused:UNUSED_PAD src0_sel:DWORD src1_sel:WORD_1
	v_pk_add_f16 v50, v22, v50 neg_lo:[0,1] neg_hi:[0,1]
	v_add_f16_e32 v27, v28, v27
	v_add_f16_e32 v28, v31, v30
	v_sub_f16_sdwa v30, v49, v22 dst_sel:DWORD dst_unused:UNUSED_PAD src0_sel:DWORD src1_sel:WORD_1
	v_add_f16_sdwa v22, v22, v59 dst_sel:DWORD dst_unused:UNUSED_PAD src0_sel:WORD_1 src1_sel:DWORD
	v_mul_f16_e32 v49, 0xba52, v44
	v_pk_mul_f16 v59, 0x39e02b26, v29
	v_sub_f16_e32 v111, v63, v67
	v_add_f16_e32 v110, v67, v63
	v_sub_f16_e32 v61, v48, v25
	v_sub_f16_sdwa v25, v25, v48 dst_sel:DWORD dst_unused:UNUSED_PAD src0_sel:WORD_1 src1_sel:DWORD
	v_add_f16_e32 v31, v48, v51
	v_add_f16_e32 v48, v27, v13
	v_add_f16_sdwa v13, v28, v13 dst_sel:DWORD dst_unused:UNUSED_PAD src0_sel:DWORD src1_sel:WORD_1
	v_mul_f16_e32 v51, 0x3a52, v46
	v_mul_f16_e32 v47, 0x2b26, v47
	;; [unrolled: 1-line block ×3, first 2 shown]
	v_pk_mul_f16 v63, 0x3574b846, v50
	v_mul_f16_e32 v30, 0x3b00, v30
	v_alignbit_b32 v49, v49, v59, 16
	v_mul_f16_e32 v62, 0x370e, v22
	v_mul_f16_e32 v64, 0x3b00, v25
	v_fmamk_f16 v27, v27, 0xbcab, v48
	v_fmamk_f16 v28, v28, 0xbcab, v13
	;; [unrolled: 1-line block ×4, first 2 shown]
	v_fma_f16 v47, v34, 0x39e0, -v47
	v_pk_fma_f16 v29, 0x39e02b26, v29, v49 neg_lo:[0,1,0] neg_hi:[0,1,0]
	v_fma_f16 v34, v34, 0xb9e0, -v51
	v_add_f16_sdwa v51, v63, v63 dst_sel:DWORD dst_unused:UNUSED_PAD src0_sel:WORD_1 src1_sel:DWORD
	v_fma_f16 v25, v25, 0x3b00, -v60
	v_pk_fma_f16 v30, 0x3574b846, v50, v30 op_sel_hi:[1,1,0] neg_lo:[0,1,0] neg_hi:[0,1,1]
	v_fmamk_f16 v49, v61, 0x3574, v60
	v_fma_f16 v59, v61, 0xb574, -v64
	v_add_f16_e32 v44, v44, v27
	v_add_f16_e32 v47, v47, v28
	v_pk_add_f16 v27, v29, v27 op_sel_hi:[1,0]
	v_fmac_f16_e32 v51, 0x370e, v22
	v_pk_add_f16 v22, v30, v62 op_sel_hi:[1,0]
	v_fmac_f16_e32 v25, 0x370e, v31
	v_add_f16_e32 v46, v46, v28
	v_add_f16_e32 v28, v34, v28
	v_fmac_f16_e32 v49, 0x370e, v31
	v_fmac_f16_e32 v59, 0x370e, v31
	v_add_f16_e32 v30, v44, v51
	v_pk_add_f16 v31, v27, v22
	v_pk_add_f16 v22, v27, v22 neg_lo:[0,1] neg_hi:[0,1]
	v_add_f16_e32 v121, v25, v47
	v_sub_f16_e32 v122, v47, v25
	v_perm_b32 v25, v8, v7, 0x5040100
	v_mad_i32_i24 v102, v58, 14, 0
	v_sub_f16_e32 v120, v28, v59
	v_add_f16_e32 v123, v59, v28
	v_bfi_b32 v29, 0xffff, v31, v22
	v_alignbit_b32 v28, v22, v31, 16
	v_pack_b32_f16 v27, v48, v30
	v_perm_b32 v4, v4, v7, 0x7060302
	v_pk_add_f16 v7, v14, v25
	v_sub_f16_e32 v22, v44, v51
	v_add_f16_sdwa v45, v33, v8 dst_sel:DWORD dst_unused:UNUSED_PAD src0_sel:DWORD src1_sel:WORD_1
	v_sub_f16_sdwa v33, v8, v33 dst_sel:DWORD dst_unused:UNUSED_PAD src0_sel:WORD_1 src1_sel:DWORD
	ds_write_b96 v102, v[27:29]
	ds_write_b16 v102, v22 offset:12
	v_pk_add_f16 v22, v20, v4
	v_pk_add_f16 v14, v25, v14 neg_lo:[0,1] neg_hi:[0,1]
	v_pk_add_f16 v4, v4, v20 neg_lo:[0,1] neg_hi:[0,1]
	v_alignbit_b32 v25, v37, v7, 16
	v_add_f16_sdwa v20, v37, v7 dst_sel:DWORD dst_unused:UNUSED_PAD src0_sel:DWORD src1_sel:WORD_1
	v_add_f16_sdwa v27, v22, v45 dst_sel:DWORD dst_unused:UNUSED_PAD src0_sel:WORD_1 src1_sel:DWORD
	v_sub_f16_e32 v30, v37, v7
	v_pack_b32_f16 v37, v33, v4
	v_pk_add_f16 v25, v7, v25 neg_lo:[0,1] neg_hi:[0,1]
	v_add_f16_sdwa v44, v14, v14 dst_sel:DWORD dst_unused:UNUSED_PAD src0_sel:WORD_1 src1_sel:DWORD
	v_sub_f16_sdwa v29, v45, v22 dst_sel:DWORD dst_unused:UNUSED_PAD src0_sel:DWORD src1_sel:WORD_1
	v_sub_f16_sdwa v31, v22, v22 dst_sel:DWORD dst_unused:UNUSED_PAD src0_sel:WORD_1 src1_sel:DWORD
	v_sub_f16_e32 v34, v22, v45
	v_add_f16_e32 v45, v33, v4
	v_pk_add_f16 v37, v4, v37 neg_lo:[0,1] neg_hi:[0,1]
	v_add_f16_e32 v7, v20, v7
	v_add_f16_e32 v20, v27, v22
	v_sub_f16_sdwa v22, v33, v4 dst_sel:DWORD dst_unused:UNUSED_PAD src0_sel:DWORD src1_sel:WORD_1
	v_add_f16_e32 v27, v32, v44
	v_pk_mul_f16 v44, 0x39e02b26, v25
	v_mul_f16_e32 v48, 0xba52, v30
	v_sub_f16_e32 v119, v46, v49
	v_add_f16_e32 v8, v49, v46
	v_sub_f16_sdwa v46, v14, v14 dst_sel:DWORD dst_unused:UNUSED_PAD src0_sel:DWORD src1_sel:WORD_1
	v_sub_f16_e32 v47, v32, v14
	v_sub_f16_sdwa v14, v14, v32 dst_sel:DWORD dst_unused:UNUSED_PAD src0_sel:WORD_1 src1_sel:DWORD
	v_add_f16_sdwa v4, v4, v45 dst_sel:DWORD dst_unused:UNUSED_PAD src0_sel:WORD_1 src1_sel:DWORD
	v_add_f16_e32 v32, v7, v3
	v_pk_mul_f16 v49, 0x3574b846, v37
	v_mul_f16_e32 v22, 0x3b00, v22
	v_alignbit_b32 v48, v48, v44, 16
	v_mul_f16_e32 v45, 0x370e, v4
	v_fmamk_f16 v7, v7, 0xbcab, v32
	v_fmamk_f16 v30, v30, 0x3a52, v44
	v_add_f16_sdwa v44, v49, v49 dst_sel:DWORD dst_unused:UNUSED_PAD src0_sel:WORD_1 src1_sel:DWORD
	v_pk_fma_f16 v25, 0x39e02b26, v25, v48 neg_lo:[0,1,0] neg_hi:[0,1,0]
	v_pk_fma_f16 v22, 0x3574b846, v37, v22 op_sel_hi:[1,1,0] neg_lo:[0,1,0] neg_hi:[0,1,1]
	v_add_f16_sdwa v3, v20, v3 dst_sel:DWORD dst_unused:UNUSED_PAD src0_sel:DWORD src1_sel:WORD_1
	v_mul_f16_e32 v33, 0x3a52, v31
	v_mul_f16_e32 v34, 0x2b26, v34
	v_add_f16_e32 v37, v30, v7
	v_pk_add_f16 v7, v25, v7 op_sel_hi:[1,0]
	v_pk_add_f16 v22, v22, v45 op_sel_hi:[1,0]
	v_fmac_f16_e32 v44, 0x370e, v4
	v_mul_f16_e32 v46, 0xb846, v46
	v_mul_f16_e32 v50, 0x3b00, v14
	v_fmamk_f16 v20, v20, 0xbcab, v3
	v_fmamk_f16 v31, v31, 0x3a52, v34
	v_fma_f16 v34, v29, 0x39e0, -v34
	v_fma_f16 v29, v29, 0xb9e0, -v33
	v_pk_add_f16 v4, v7, v22
	v_pk_add_f16 v7, v7, v22 neg_lo:[0,1] neg_hi:[0,1]
	v_add_f16_e32 v22, v37, v44
	v_mad_i32_i24 v28, v57, 14, 0
	v_fmamk_f16 v33, v47, 0x3574, v46
	v_fma_f16 v14, v14, 0x3b00, -v46
	v_fma_f16 v46, v47, 0xb574, -v50
	v_add_f16_e32 v47, v31, v20
	v_add_f16_e32 v34, v34, v20
	;; [unrolled: 1-line block ×3, first 2 shown]
	v_bfi_b32 v31, 0xffff, v4, v7
	v_alignbit_b32 v30, v7, v4, 16
	v_pack_b32_f16 v29, v32, v22
	v_sub_f16_e32 v4, v37, v44
	ds_write_b96 v28, v[29:31]
	ds_write_b16 v28, v4 offset:12
	v_and_b32_e32 v4, 0xff, v52
	v_fmac_f16_e32 v33, 0x370e, v27
	v_fmac_f16_e32 v14, 0x370e, v27
	;; [unrolled: 1-line block ×3, first 2 shown]
	v_lshl_add_u32 v30, v52, 1, 0
	v_mul_lo_u16 v4, v4, 37
	v_pack_b32_f16 v11, v11, v12
	v_pack_b32_f16 v10, v9, v10
	;; [unrolled: 1-line block ×3, first 2 shown]
	v_lshl_add_u32 v32, v55, 1, 0
	v_lshrrev_b16 v1, 8, v4
	v_pack_b32_f16 v118, v36, v38
	v_pack_b32_f16 v117, v26, v35
	v_pack_b32_f16 v116, v15, v24
	v_sub_f16_e32 v124, v47, v33
	v_sub_f16_e32 v125, v20, v46
	v_add_f16_e32 v126, v14, v34
	v_sub_f16_e32 v7, v34, v14
	v_add_f16_e32 v14, v46, v20
	v_add_f16_e32 v20, v33, v47
	v_lshl_add_u32 v33, v56, 1, 0
	v_lshl_add_u32 v34, v58, 1, 0
	s_waitcnt lgkmcnt(0)
	s_barrier
	buffer_gl0_inv
	v_lshl_add_u32 v29, v53, 1, 0
	v_lshl_add_u32 v31, v54, 1, 0
	ds_read_u16 v60, v30 offset:3626
	ds_read_u16 v62, v30 offset:4312
	;; [unrolled: 1-line block ×3, first 2 shown]
	ds_read_u16 v44, v32
	ds_read_u16 v37, v33
	;; [unrolled: 1-line block ×3, first 2 shown]
	ds_read_u16 v92, v30 offset:1372
	ds_read_u16 v90, v30 offset:1470
	;; [unrolled: 1-line block ×15, first 2 shown]
	v_mad_i32_i24 v22, v57, -12, v28
	ds_read_u16 v64, v30 offset:3724
	ds_read_u16 v63, v30 offset:3822
	;; [unrolled: 1-line block ×5, first 2 shown]
	ds_read_u16 v25, v22
	ds_read_u16 v47, v30
	ds_read_u16 v96, v30 offset:686
	ds_read_u16 v93, v30 offset:784
	;; [unrolled: 1-line block ×18, first 2 shown]
	ds_read_u16 v45, v31
	ds_read_u16 v46, v29
	ds_read_u16 v59, v30 offset:4704
	s_waitcnt lgkmcnt(0)
	s_barrier
	buffer_gl0_inv
	ds_write_b96 v0, v[9:11]
	ds_write_b16 v0, v6 offset:12
	ds_write_b96 v2, v[116:118]
	v_sub_nc_u16 v0, v52, v1
	v_pack_b32_f16 v6, v98, v99
	v_pack_b32_f16 v5, v43, v97
	;; [unrolled: 1-line block ×3, first 2 shown]
	ds_write_b16 v2, v23 offset:12
	ds_write_b96 v21, v[4:6]
	v_lshrrev_b16 v0, 1, v0
	v_and_b32_e32 v4, 0xff, v53
	v_pack_b32_f16 v11, v108, v109
	v_pack_b32_f16 v10, v105, v107
	;; [unrolled: 1-line block ×3, first 2 shown]
	v_and_b32_e32 v0, 0x7f, v0
	v_mul_lo_u16 v4, v4, 37
	ds_write_b16 v21, v40 offset:12
	ds_write_b96 v41, v[9:11]
	v_pack_b32_f16 v2, v114, v115
	v_add_nc_u16 v5, v0, v1
	v_pack_b32_f16 v1, v112, v113
	v_pack_b32_f16 v0, v103, v111
	v_lshrrev_b16 v9, 8, v4
	ds_write_b16 v41, v106 offset:12
	v_lshrrev_b16 v35, 2, v5
	ds_write_b96 v100, v[0:2]
	ds_write_b16 v100, v110 offset:12
	v_sub_nc_u16 v0, v53, v9
	v_pack_b32_f16 v6, v122, v123
	v_mul_lo_u16 v10, v35, 7
	v_pack_b32_f16 v5, v120, v121
	v_pack_b32_f16 v4, v13, v119
	;; [unrolled: 1-line block ×3, first 2 shown]
	v_mov_b32_e32 v97, 6
	v_sub_nc_u16 v36, v52, v10
	v_lshrrev_b16 v7, 1, v0
	v_pack_b32_f16 v1, v125, v126
	v_pack_b32_f16 v0, v3, v124
	ds_write_b96 v102, v[4:6]
	v_mul_u32_u24_sdwa v3, v36, v97 dst_sel:DWORD dst_unused:UNUSED_PAD src0_sel:BYTE_0 src1_sel:DWORD
	v_and_b32_e32 v4, 0x7f, v7
	ds_write_b16 v102, v8 offset:12
	ds_write_b96 v28, v[0:2]
	ds_write_b16 v28, v20 offset:12
	v_and_b32_e32 v24, 0xff, v54
	v_lshlrev_b32_e32 v20, 2, v3
	v_add_nc_u16 v4, v4, v9
	s_waitcnt lgkmcnt(0)
	s_barrier
	buffer_gl0_inv
	global_load_dwordx4 v[0:3], v20, s[12:13]
	v_lshrrev_b16 v38, 2, v4
	v_mul_lo_u16 v4, v24, 37
	v_and_b32_e32 v23, 0xff, v55
	v_and_b32_e32 v26, 0xff, v56
	v_mul_lo_u16 v5, v38, 7
	v_lshrrev_b16 v4, 8, v4
	v_mul_lo_u16 v118, v26, 37
	v_sub_nc_u16 v39, v53, v5
	v_sub_nc_u16 v5, v54, v4
	v_lshrrev_b16 v118, 8, v118
	v_mul_u32_u24_sdwa v6, v39, v97 dst_sel:DWORD dst_unused:UNUSED_PAD src0_sel:BYTE_0 src1_sel:DWORD
	v_lshrrev_b16 v5, 1, v5
	v_lshlrev_b32_e32 v103, 2, v6
	v_and_b32_e32 v5, 0x7f, v5
	global_load_dwordx4 v[12:15], v103, s[12:13]
	v_add_nc_u16 v4, v5, v4
	v_lshrrev_b16 v40, 2, v4
	v_mul_lo_u16 v4, v40, 7
	v_sub_nc_u16 v43, v54, v4
	v_mul_lo_u16 v4, v23, 37
	v_mul_u32_u24_sdwa v5, v43, v97 dst_sel:DWORD dst_unused:UNUSED_PAD src0_sel:BYTE_0 src1_sel:DWORD
	v_lshrrev_b16 v4, 8, v4
	v_lshlrev_b32_e32 v102, 2, v5
	v_sub_nc_u16 v5, v55, v4
	global_load_dwordx4 v[8:11], v102, s[12:13]
	v_lshrrev_b16 v5, 1, v5
	v_and_b32_e32 v5, 0x7f, v5
	v_add_nc_u16 v4, v5, v4
	v_lshrrev_b16 v41, 2, v4
	v_mul_lo_u16 v4, v41, 7
	v_sub_nc_u16 v42, v55, v4
	v_mul_u32_u24_sdwa v4, v42, v97 dst_sel:DWORD dst_unused:UNUSED_PAD src0_sel:BYTE_0 src1_sel:DWORD
	v_lshlrev_b32_e32 v100, 2, v4
	global_load_dwordx4 v[4:7], v100, s[12:13]
	ds_read_u16 v109, v30 offset:686
	ds_read_u16 v107, v30 offset:2744
	;; [unrolled: 1-line block ×17, first 2 shown]
	global_load_dwordx2 v[20:21], v20, s[12:13] offset:16
	ds_read_u16 v129, v30
	ds_read_u16 v121, v30 offset:2156
	ds_read_u16 v122, v30 offset:2254
	;; [unrolled: 1-line block ×6, first 2 shown]
	global_load_dwordx2 v[123:124], v103, s[12:13] offset:16
	ds_read_u16 v143, v30 offset:3626
	s_waitcnt vmcnt(5) lgkmcnt(24)
	v_mul_f16_sdwa v119, v109, v0 dst_sel:DWORD dst_unused:UNUSED_PAD src0_sel:DWORD src1_sel:WORD_1
	v_mul_f16_sdwa v130, v96, v0 dst_sel:DWORD dst_unused:UNUSED_PAD src0_sel:DWORD src1_sel:WORD_1
	s_waitcnt lgkmcnt(21)
	v_mul_f16_sdwa v120, v108, v1 dst_sel:DWORD dst_unused:UNUSED_PAD src0_sel:DWORD src1_sel:WORD_1
	v_mul_f16_sdwa v136, v92, v1 dst_sel:DWORD dst_unused:UNUSED_PAD src0_sel:DWORD src1_sel:WORD_1
	;; [unrolled: 1-line block ×3, first 2 shown]
	v_fma_f16 v134, v96, v0, -v119
	v_sub_nc_u16 v96, v56, v118
	v_fma_f16 v135, v92, v1, -v120
	v_fmac_f16_e32 v130, v109, v0
	s_waitcnt lgkmcnt(9)
	v_mul_f16_sdwa v0, v117, v2 dst_sel:DWORD dst_unused:UNUSED_PAD src0_sel:DWORD src1_sel:WORD_1
	v_fmac_f16_e32 v136, v108, v1
	v_lshrrev_b16 v92, 1, v96
	v_fmac_f16_e32 v137, v117, v2
	v_mul_f16_sdwa v96, v107, v3 dst_sel:DWORD dst_unused:UNUSED_PAD src0_sel:DWORD src1_sel:WORD_1
	v_fma_f16 v139, v94, v2, -v0
	v_mul_f16_sdwa v138, v95, v3 dst_sel:DWORD dst_unused:UNUSED_PAD src0_sel:DWORD src1_sel:WORD_1
	v_and_b32_e32 v1, 0x7f, v92
	v_mov_b32_e32 v92, 0x2493
	v_fma_f16 v140, v95, v3, -v96
	v_fmac_f16_e32 v138, v107, v3
	v_add_nc_u16 v0, v1, v118
	v_mul_u32_u24_sdwa v2, v58, v92 dst_sel:DWORD dst_unused:UNUSED_PAD src0_sel:WORD_0 src1_sel:DWORD
	s_waitcnt vmcnt(4)
	v_mul_f16_sdwa v1, v116, v12 dst_sel:DWORD dst_unused:UNUSED_PAD src0_sel:DWORD src1_sel:WORD_1
	v_lshrrev_b16 v0, 2, v0
	v_lshrrev_b32_e32 v94, 16, v2
	v_mul_f16_sdwa v3, v106, v13 dst_sel:DWORD dst_unused:UNUSED_PAD src0_sel:DWORD src1_sel:WORD_1
	v_mul_f16_sdwa v142, v90, v13 dst_sel:DWORD dst_unused:UNUSED_PAD src0_sel:DWORD src1_sel:WORD_1
	v_fma_f16 v144, v93, v12, -v1
	v_mul_lo_u16 v2, v0, 7
	v_sub_nc_u16 v1, v58, v94
	v_fma_f16 v145, v90, v13, -v3
	v_fmac_f16_e32 v142, v106, v13
	v_mul_u32_u24_sdwa v13, v57, v92 dst_sel:DWORD dst_unused:UNUSED_PAD src0_sel:WORD_0 src1_sel:DWORD
	v_mul_f16_sdwa v141, v93, v12 dst_sel:DWORD dst_unused:UNUSED_PAD src0_sel:DWORD src1_sel:WORD_1
	v_sub_nc_u16 v2, v56, v2
	v_lshrrev_b16 v1, 1, v1
	s_waitcnt lgkmcnt(6)
	v_mul_f16_sdwa v3, v121, v14 dst_sel:DWORD dst_unused:UNUSED_PAD src0_sel:DWORD src1_sel:WORD_1
	v_lshrrev_b32_e32 v103, 16, v13
	v_fmac_f16_e32 v141, v116, v12
	v_mul_u32_u24_sdwa v12, v2, v97 dst_sel:DWORD dst_unused:UNUSED_PAD src0_sel:BYTE_0 src1_sel:DWORD
	v_add_nc_u16 v1, v1, v94
	v_fma_f16 v148, v88, v14, -v3
	v_sub_nc_u16 v3, v57, v103
	v_mul_f16_sdwa v90, v105, v15 dst_sel:DWORD dst_unused:UNUSED_PAD src0_sel:DWORD src1_sel:WORD_1
	v_lshlrev_b32_e32 v96, 2, v12
	v_lshrrev_b16 v1, 2, v1
	v_mul_f16_sdwa v147, v91, v15 dst_sel:DWORD dst_unused:UNUSED_PAD src0_sel:DWORD src1_sel:WORD_1
	v_lshrrev_b16 v3, 1, v3
	v_mul_f16_sdwa v146, v88, v14 dst_sel:DWORD dst_unused:UNUSED_PAD src0_sel:DWORD src1_sel:WORD_1
	ds_read_u16 v88, v30 offset:2940
	global_load_dwordx4 v[92:95], v96, s[12:13]
	v_mul_lo_u16 v12, v1, 7
	v_add_nc_u16 v3, v3, v103
	v_fma_f16 v149, v91, v15, -v90
	v_fmac_f16_e32 v147, v105, v15
	s_waitcnt vmcnt(4)
	v_mul_f16_sdwa v15, v115, v8 dst_sel:DWORD dst_unused:UNUSED_PAD src0_sel:DWORD src1_sel:WORD_1
	v_sub_nc_u16 v12, v58, v12
	v_mul_f16_sdwa v150, v89, v8 dst_sel:DWORD dst_unused:UNUSED_PAD src0_sel:DWORD src1_sel:WORD_1
	v_mul_f16_sdwa v90, v104, v9 dst_sel:DWORD dst_unused:UNUSED_PAD src0_sel:DWORD src1_sel:WORD_1
	v_lshrrev_b16 v3, 2, v3
	v_mul_f16_sdwa v151, v85, v9 dst_sel:DWORD dst_unused:UNUSED_PAD src0_sel:DWORD src1_sel:WORD_1
	v_mul_u32_u24_sdwa v91, v12, v97 dst_sel:DWORD dst_unused:UNUSED_PAD src0_sel:WORD_0 src1_sel:DWORD
	v_fma_f16 v152, v89, v8, -v15
	v_fmac_f16_e32 v150, v115, v8
	v_fma_f16 v153, v85, v9, -v90
	s_waitcnt lgkmcnt(6)
	v_mul_f16_sdwa v8, v122, v10 dst_sel:DWORD dst_unused:UNUSED_PAD src0_sel:DWORD src1_sel:WORD_1
	v_mul_lo_u16 v85, v3, 7
	v_lshlrev_b32_e32 v15, 2, v91
	v_fmac_f16_e32 v151, v104, v9
	v_mul_f16_sdwa v154, v86, v10 dst_sel:DWORD dst_unused:UNUSED_PAD src0_sel:DWORD src1_sel:WORD_1
	v_fma_f16 v155, v86, v10, -v8
	v_sub_nc_u16 v8, v57, v85
	global_load_dwordx4 v[115:118], v15, s[12:13]
	v_fmac_f16_e32 v146, v121, v14
	global_load_dwordx2 v[13:14], v102, s[12:13] offset:16
	v_fmac_f16_e32 v154, v122, v10
	v_mul_u32_u24_sdwa v9, v8, v97 dst_sel:DWORD dst_unused:UNUSED_PAD src0_sel:WORD_0 src1_sel:DWORD
	s_waitcnt lgkmcnt(0)
	v_mul_f16_sdwa v10, v88, v11 dst_sel:DWORD dst_unused:UNUSED_PAD src0_sel:DWORD src1_sel:WORD_1
	ds_read_u16 v85, v30 offset:3038
	ds_read_u16 v86, v30 offset:3136
	;; [unrolled: 1-line block ×5, first 2 shown]
	v_mul_f16_sdwa v158, v84, v11 dst_sel:DWORD dst_unused:UNUSED_PAD src0_sel:DWORD src1_sel:WORD_1
	v_lshlrev_b32_e32 v90, 2, v9
	v_fma_f16 v159, v84, v11, -v10
	s_clause 0x1
	global_load_dwordx4 v[119:122], v90, s[12:13]
	global_load_dwordx2 v[9:10], v100, s[12:13] offset:16
	v_fmac_f16_e32 v158, v88, v11
	s_waitcnt vmcnt(7)
	v_mul_f16_sdwa v11, v114, v4 dst_sel:DWORD dst_unused:UNUSED_PAD src0_sel:DWORD src1_sel:WORD_1
	v_mul_f16_sdwa v109, v87, v4 dst_sel:DWORD dst_unused:UNUSED_PAD src0_sel:DWORD src1_sel:WORD_1
	;; [unrolled: 1-line block ×3, first 2 shown]
	v_fma_f16 v127, v87, v4, -v11
	v_fmac_f16_e32 v109, v114, v4
	v_mul_f16_sdwa v4, v101, v5 dst_sel:DWORD dst_unused:UNUSED_PAD src0_sel:DWORD src1_sel:WORD_1
	v_fmac_f16_e32 v107, v101, v5
	v_mul_f16_sdwa v101, v81, v6 dst_sel:DWORD dst_unused:UNUSED_PAD src0_sel:DWORD src1_sel:WORD_1
	v_fma_f16 v125, v80, v5, -v4
	v_mul_f16_sdwa v4, v126, v6 dst_sel:DWORD dst_unused:UNUSED_PAD src0_sel:DWORD src1_sel:WORD_1
	v_fmac_f16_e32 v101, v126, v6
	v_mul_f16_sdwa v126, v82, v7 dst_sel:DWORD dst_unused:UNUSED_PAD src0_sel:DWORD src1_sel:WORD_1
	v_fma_f16 v108, v81, v6, -v4
	s_waitcnt lgkmcnt(4)
	v_mul_f16_sdwa v4, v85, v7 dst_sel:DWORD dst_unused:UNUSED_PAD src0_sel:DWORD src1_sel:WORD_1
	v_fmac_f16_e32 v126, v85, v7
	v_fma_f16 v128, v82, v7, -v4
	s_clause 0x2
	global_load_dwordx2 v[4:5], v96, s[12:13] offset:16
	global_load_dwordx2 v[6:7], v15, s[12:13] offset:16
	;; [unrolled: 1-line block ×3, first 2 shown]
	ds_read_u16 v15, v30 offset:3528
	ds_read_u16 v85, v30 offset:4116
	;; [unrolled: 1-line block ×3, first 2 shown]
	s_waitcnt vmcnt(7)
	v_mul_f16_sdwa v11, v113, v92 dst_sel:DWORD dst_unused:UNUSED_PAD src0_sel:DWORD src1_sel:WORD_1
	v_mul_f16_sdwa v102, v78, v95 dst_sel:DWORD dst_unused:UNUSED_PAD src0_sel:DWORD src1_sel:WORD_1
	;; [unrolled: 1-line block ×5, first 2 shown]
	v_fma_f16 v105, v83, v92, -v11
	v_mul_f16_sdwa v11, v99, v93 dst_sel:DWORD dst_unused:UNUSED_PAD src0_sel:DWORD src1_sel:WORD_1
	s_waitcnt lgkmcnt(6)
	v_fmac_f16_e32 v102, v86, v95
	v_fmac_f16_e32 v90, v99, v93
	;; [unrolled: 1-line block ×4, first 2 shown]
	v_fma_f16 v104, v76, v93, -v11
	v_mul_f16_sdwa v11, v131, v94 dst_sel:DWORD dst_unused:UNUSED_PAD src0_sel:DWORD src1_sel:WORD_1
	v_mul_f16_sdwa v92, v67, v20 dst_sel:DWORD dst_unused:UNUSED_PAD src0_sel:DWORD src1_sel:WORD_1
	v_fma_f16 v103, v77, v94, -v11
	v_mul_f16_sdwa v11, v86, v95 dst_sel:DWORD dst_unused:UNUSED_PAD src0_sel:DWORD src1_sel:WORD_1
	s_waitcnt lgkmcnt(1)
	v_mul_f16_sdwa v94, v85, v21 dst_sel:DWORD dst_unused:UNUSED_PAD src0_sel:DWORD src1_sel:WORD_1
	v_fmac_f16_e32 v92, v157, v20
	s_waitcnt vmcnt(6)
	v_mul_f16_sdwa v76, v132, v117 dst_sel:DWORD dst_unused:UNUSED_PAD src0_sel:DWORD src1_sel:WORD_1
	v_fma_f16 v106, v78, v95, -v11
	v_mul_f16_sdwa v11, v112, v115 dst_sel:DWORD dst_unused:UNUSED_PAD src0_sel:DWORD src1_sel:WORD_1
	v_mul_f16_sdwa v80, v71, v118 dst_sel:DWORD dst_unused:UNUSED_PAD src0_sel:DWORD src1_sel:WORD_1
	;; [unrolled: 1-line block ×4, first 2 shown]
	v_fma_f16 v81, v70, v117, -v76
	v_fma_f16 v82, v79, v115, -v11
	v_mul_f16_sdwa v11, v98, v116 dst_sel:DWORD dst_unused:UNUSED_PAD src0_sel:DWORD src1_sel:WORD_1
	v_mul_f16_sdwa v79, v69, v116 dst_sel:DWORD dst_unused:UNUSED_PAD src0_sel:DWORD src1_sel:WORD_1
	v_fmac_f16_e32 v80, v89, v118
	v_mul_f16_sdwa v95, v68, v21 dst_sel:DWORD dst_unused:UNUSED_PAD src0_sel:DWORD src1_sel:WORD_1
	v_fmac_f16_e32 v78, v112, v115
	v_fma_f16 v83, v69, v116, -v11
	v_mul_f16_sdwa v11, v89, v118 dst_sel:DWORD dst_unused:UNUSED_PAD src0_sel:DWORD src1_sel:WORD_1
	s_waitcnt vmcnt(4)
	v_mul_f16_sdwa v86, v156, v122 dst_sel:DWORD dst_unused:UNUSED_PAD src0_sel:DWORD src1_sel:WORD_1
	v_mul_f16_sdwa v70, v73, v122 dst_sel:DWORD dst_unused:UNUSED_PAD src0_sel:DWORD src1_sel:WORD_1
	v_fmac_f16_e32 v79, v98, v116
	v_mul_f16_sdwa v69, v110, v120 dst_sel:DWORD dst_unused:UNUSED_PAD src0_sel:DWORD src1_sel:WORD_1
	v_fma_f16 v84, v71, v118, -v11
	v_mul_f16_sdwa v11, v111, v119 dst_sel:DWORD dst_unused:UNUSED_PAD src0_sel:DWORD src1_sel:WORD_1
	v_fma_f16 v73, v73, v122, -v86
	ds_read_u16 v86, v30 offset:4312
	ds_read_u16 v89, v30 offset:4410
	ds_read_u16 v93, v30 offset:4018
	ds_read_u16 v98, v30 offset:3724
	ds_read_u16 v99, v30 offset:3822
	v_fma_f16 v76, v75, v119, -v11
	v_mul_f16_sdwa v11, v133, v121 dst_sel:DWORD dst_unused:UNUSED_PAD src0_sel:DWORD src1_sel:WORD_1
	v_mul_f16_sdwa v71, v75, v119 dst_sel:DWORD dst_unused:UNUSED_PAD src0_sel:DWORD src1_sel:WORD_1
	v_fma_f16 v75, v74, v120, -v69
	v_mul_f16_sdwa v69, v72, v121 dst_sel:DWORD dst_unused:UNUSED_PAD src0_sel:DWORD src1_sel:WORD_1
	v_fmac_f16_e32 v95, v85, v21
	v_fma_f16 v72, v72, v121, -v11
	v_mul_f16_sdwa v11, v157, v20 dst_sel:DWORD dst_unused:UNUSED_PAD src0_sel:DWORD src1_sel:WORD_1
	v_fmac_f16_e32 v71, v111, v119
	v_mul_f16_sdwa v85, v143, v13 dst_sel:DWORD dst_unused:UNUSED_PAD src0_sel:DWORD src1_sel:WORD_1
	v_mul_f16_sdwa v111, v60, v13 dst_sel:DWORD dst_unused:UNUSED_PAD src0_sel:DWORD src1_sel:WORD_1
	;; [unrolled: 1-line block ×3, first 2 shown]
	v_fma_f16 v11, v67, v20, -v11
	v_fma_f16 v20, v68, v21, -v94
	v_mul_f16_sdwa v21, v15, v123 dst_sel:DWORD dst_unused:UNUSED_PAD src0_sel:DWORD src1_sel:WORD_1
	v_mul_f16_sdwa v67, v65, v123 dst_sel:DWORD dst_unused:UNUSED_PAD src0_sel:DWORD src1_sel:WORD_1
	s_waitcnt lgkmcnt(5)
	v_mul_f16_sdwa v68, v87, v124 dst_sel:DWORD dst_unused:UNUSED_PAD src0_sel:DWORD src1_sel:WORD_1
	v_fma_f16 v100, v60, v13, -v85
	s_waitcnt lgkmcnt(4)
	v_mul_f16_sdwa v60, v86, v14 dst_sel:DWORD dst_unused:UNUSED_PAD src0_sel:DWORD src1_sel:WORD_1
	v_fma_f16 v21, v65, v123, -v21
	ds_read_u16 v65, v30 offset:3920
	v_fmac_f16_e32 v111, v143, v13
	ds_read_u16 v13, v30 offset:4508
	v_fmac_f16_e32 v77, v132, v117
	v_mul_f16_sdwa v94, v66, v124 dst_sel:DWORD dst_unused:UNUSED_PAD src0_sel:DWORD src1_sel:WORD_1
	v_fmac_f16_e32 v67, v15, v123
	v_fma_f16 v15, v66, v124, -v68
	v_fma_f16 v113, v62, v14, -v60
	v_fmac_f16_e32 v112, v86, v14
	ds_read_u16 v14, v30 offset:4606
	s_waitcnt vmcnt(3) lgkmcnt(4)
	v_mul_f16_sdwa v66, v98, v9 dst_sel:DWORD dst_unused:UNUSED_PAD src0_sel:DWORD src1_sel:WORD_1
	v_mul_f16_sdwa v132, v64, v9 dst_sel:DWORD dst_unused:UNUSED_PAD src0_sel:DWORD src1_sel:WORD_1
	v_fmac_f16_e32 v69, v133, v121
	s_waitcnt vmcnt(2) lgkmcnt(3)
	v_mul_f16_sdwa v62, v99, v4 dst_sel:DWORD dst_unused:UNUSED_PAD src0_sel:DWORD src1_sel:WORD_1
	v_mul_f16_sdwa v121, v63, v4 dst_sel:DWORD dst_unused:UNUSED_PAD src0_sel:DWORD src1_sel:WORD_1
	v_fma_f16 v131, v64, v9, -v66
	v_fmac_f16_e32 v132, v98, v9
	ds_read_u16 v9, v30 offset:4704
	v_fmac_f16_e32 v94, v87, v124
	v_fma_f16 v124, v63, v4, -v62
	v_fmac_f16_e32 v121, v99, v4
	v_fmac_f16_e32 v70, v156, v122
	s_waitcnt lgkmcnt(2)
	v_mul_f16_sdwa v4, v13, v5 dst_sel:DWORD dst_unused:UNUSED_PAD src0_sel:DWORD src1_sel:WORD_1
	v_mul_f16_sdwa v60, v89, v10 dst_sel:DWORD dst_unused:UNUSED_PAD src0_sel:DWORD src1_sel:WORD_1
	;; [unrolled: 1-line block ×4, first 2 shown]
	s_waitcnt vmcnt(0)
	v_mul_f16_sdwa v86, v59, v97 dst_sel:DWORD dst_unused:UNUSED_PAD src0_sel:DWORD src1_sel:WORD_1
	v_fma_f16 v157, v50, v5, -v4
	v_mul_f16_sdwa v4, v93, v96 dst_sel:DWORD dst_unused:UNUSED_PAD src0_sel:DWORD src1_sel:WORD_1
	v_mul_f16_sdwa v74, v74, v120 dst_sel:DWORD dst_unused:UNUSED_PAD src0_sel:DWORD src1_sel:WORD_1
	v_fma_f16 v143, v61, v10, -v60
	v_fmac_f16_e32 v133, v89, v10
	v_mul_f16_sdwa v10, v65, v6 dst_sel:DWORD dst_unused:UNUSED_PAD src0_sel:DWORD src1_sel:WORD_1
	v_mul_f16_sdwa v119, v49, v6 dst_sel:DWORD dst_unused:UNUSED_PAD src0_sel:DWORD src1_sel:WORD_1
	v_fmac_f16_e32 v156, v13, v5
	v_mul_f16_sdwa v122, v48, v7 dst_sel:DWORD dst_unused:UNUSED_PAD src0_sel:DWORD src1_sel:WORD_1
	v_fma_f16 v85, v51, v96, -v4
	s_waitcnt lgkmcnt(0)
	v_mul_f16_sdwa v5, v9, v97 dst_sel:DWORD dst_unused:UNUSED_PAD src0_sel:DWORD src1_sel:WORD_1
	v_fmac_f16_e32 v86, v9, v97
	v_add_f16_e32 v4, v134, v20
	v_add_f16_e32 v9, v135, v11
	v_fmac_f16_e32 v74, v110, v120
	v_mul_f16_sdwa v60, v14, v7 dst_sel:DWORD dst_unused:UNUSED_PAD src0_sel:DWORD src1_sel:WORD_1
	v_fma_f16 v120, v49, v6, -v10
	v_fmac_f16_e32 v119, v65, v6
	v_fmac_f16_e32 v122, v14, v7
	v_fma_f16 v87, v59, v97, -v5
	v_sub_f16_e32 v5, v134, v20
	v_add_f16_e32 v6, v130, v95
	v_sub_f16_e32 v10, v135, v11
	v_add_f16_e32 v11, v136, v92
	v_add_f16_e32 v14, v139, v140
	v_sub_f16_e32 v20, v140, v139
	v_add_f16_e32 v49, v9, v4
	v_fma_f16 v123, v48, v7, -v60
	v_mul_f16_sdwa v68, v51, v96 dst_sel:DWORD dst_unused:UNUSED_PAD src0_sel:DWORD src1_sel:WORD_1
	v_sub_f16_e32 v13, v136, v92
	v_add_f16_e32 v48, v137, v138
	v_sub_f16_e32 v50, v138, v137
	v_sub_f16_e32 v51, v9, v4
	;; [unrolled: 1-line block ×4, first 2 shown]
	v_add_f16_e32 v14, v14, v49
	v_add_f16_e32 v49, v11, v6
	;; [unrolled: 1-line block ×3, first 2 shown]
	v_sub_f16_e32 v7, v130, v95
	v_sub_f16_e32 v59, v11, v6
	;; [unrolled: 1-line block ×4, first 2 shown]
	v_add_f16_e32 v48, v48, v49
	v_sub_f16_e32 v49, v20, v10
	v_sub_f16_e32 v20, v5, v20
	;; [unrolled: 1-line block ×3, first 2 shown]
	v_add_f16_e32 v5, v60, v5
	v_add_f16_e32 v60, v50, v13
	v_sub_f16_e32 v63, v50, v13
	v_mul_f16_e32 v4, 0x3a52, v4
	v_sub_f16_e32 v50, v7, v50
	v_sub_f16_e32 v13, v13, v7
	v_mul_f16_e32 v64, 0x2b26, v9
	v_add_f16_e32 v7, v60, v7
	v_mul_f16_e32 v6, 0x3a52, v6
	v_mul_f16_e32 v60, 0x2b26, v11
	v_fmamk_f16 v9, v9, 0x2b26, v4
	v_fma_f16 v64, v51, 0x39e0, -v64
	v_fma_f16 v51, v51, 0xb9e0, -v4
	v_mul_f16_e32 v4, 0xb846, v49
	v_fmamk_f16 v11, v11, 0x2b26, v6
	v_fma_f16 v49, v59, 0x39e0, -v60
	v_fma_f16 v6, v59, 0xb9e0, -v6
	v_mul_f16_e32 v59, 0x3b00, v10
	v_fma_f16 v10, v10, 0x3b00, -v4
	v_fmamk_f16 v65, v20, 0x3574, v4
	v_add_f16_e32 v47, v47, v14
	v_mul_f16_e32 v60, 0xb846, v63
	v_fma_f16 v20, v20, 0xb574, -v59
	v_add_f16_e32 v4, v129, v48
	v_mul_f16_e32 v59, 0x3b00, v13
	v_fmamk_f16 v14, v14, 0xbcab, v47
	v_fma_f16 v13, v13, 0x3b00, -v60
	v_fmamk_f16 v63, v50, 0x3574, v60
	v_fmamk_f16 v48, v48, 0xbcab, v4
	v_fma_f16 v60, v50, 0xb574, -v59
	v_add_f16_e32 v66, v9, v14
	v_add_f16_e32 v9, v64, v14
	v_add_f16_e32 v14, v51, v14
	v_add_f16_e32 v64, v11, v48
	v_add_f16_e32 v11, v49, v48
	v_add_f16_e32 v48, v6, v48
	v_fmac_f16_e32 v13, 0x370e, v7
	v_fmac_f16_e32 v20, 0x370e, v5
	;; [unrolled: 1-line block ×6, first 2 shown]
	v_sub_f16_e32 v49, v9, v13
	v_add_f16_e32 v50, v13, v9
	v_add_f16_e32 v59, v60, v14
	v_sub_f16_e32 v51, v14, v60
	v_sub_f16_e32 v9, v48, v20
	v_add_f16_e32 v7, v20, v48
	v_add_f16_e32 v60, v63, v66
	v_sub_f16_e32 v48, v66, v63
	v_add_f16_e32 v13, v144, v15
	v_add_f16_e32 v63, v145, v21
	ds_read_u16 v110, v32
	ds_read_u16 v89, v33
	;; [unrolled: 1-line block ×5, first 2 shown]
	v_fmac_f16_e32 v68, v93, v96
	v_add_f16_e32 v5, v10, v11
	v_sub_f16_e32 v6, v11, v10
	v_sub_f16_e32 v11, v64, v65
	v_add_f16_e32 v10, v65, v64
	v_sub_f16_e32 v14, v144, v15
	v_add_f16_e32 v15, v141, v94
	;; [unrolled: 2-line block ×6, first 2 shown]
	v_sub_f16_e32 v94, v147, v146
	v_sub_f16_e32 v95, v63, v13
	;; [unrolled: 1-line block ×4, first 2 shown]
	v_add_f16_e32 v66, v66, v93
	v_add_f16_e32 v93, v64, v15
	;; [unrolled: 1-line block ×3, first 2 shown]
	v_sub_f16_e32 v96, v64, v15
	v_sub_f16_e32 v15, v15, v92
	;; [unrolled: 1-line block ×3, first 2 shown]
	v_add_f16_e32 v92, v92, v93
	v_sub_f16_e32 v93, v67, v21
	v_sub_f16_e32 v67, v14, v67
	;; [unrolled: 1-line block ×3, first 2 shown]
	v_add_f16_e32 v14, v97, v14
	v_add_f16_e32 v97, v94, v65
	v_mul_f16_e32 v13, 0x3a52, v13
	v_mul_f16_e32 v114, 0x2b26, v63
	v_sub_f16_e32 v99, v94, v65
	v_sub_f16_e32 v94, v20, v94
	;; [unrolled: 1-line block ×3, first 2 shown]
	v_add_f16_e32 v20, v97, v20
	v_fmamk_f16 v63, v63, 0x2b26, v13
	v_mul_f16_e32 v15, 0x3a52, v15
	v_mul_f16_e32 v97, 0x2b26, v64
	v_fma_f16 v114, v95, 0x39e0, -v114
	v_fma_f16 v95, v95, 0xb9e0, -v13
	v_mul_f16_e32 v13, 0xb846, v93
	v_fmamk_f16 v64, v64, 0x2b26, v15
	v_fma_f16 v93, v96, 0x39e0, -v97
	v_fma_f16 v15, v96, 0xb9e0, -v15
	v_mul_f16_e32 v96, 0x3b00, v21
	v_fma_f16 v21, v21, 0x3b00, -v13
	v_fmamk_f16 v97, v67, 0x3574, v13
	v_add_f16_e32 v46, v46, v66
	v_mul_f16_e32 v99, 0xb846, v99
	s_waitcnt lgkmcnt(0)
	v_add_f16_e32 v13, v62, v92
	v_mul_f16_e32 v62, 0x3b00, v65
	v_fma_f16 v67, v67, 0xb574, -v96
	v_fmamk_f16 v66, v66, 0xbcab, v46
	v_fma_f16 v65, v65, 0x3b00, -v99
	v_fmamk_f16 v96, v94, 0x3574, v99
	v_fmamk_f16 v92, v92, 0xbcab, v13
	v_fma_f16 v94, v94, 0xb574, -v62
	v_add_f16_e32 v99, v63, v66
	v_add_f16_e32 v63, v114, v66
	;; [unrolled: 1-line block ×6, first 2 shown]
	v_fmac_f16_e32 v65, 0x370e, v20
	v_fmac_f16_e32 v21, 0x370e, v14
	;; [unrolled: 1-line block ×6, first 2 shown]
	v_sub_f16_e32 v62, v63, v65
	v_add_f16_e32 v63, v65, v63
	v_add_f16_e32 v14, v21, v64
	v_sub_f16_e32 v15, v64, v21
	v_add_f16_e32 v66, v94, v95
	v_sub_f16_e32 v64, v95, v94
	v_sub_f16_e32 v21, v92, v67
	v_add_f16_e32 v20, v67, v92
	v_add_f16_e32 v67, v96, v99
	v_sub_f16_e32 v65, v99, v96
	v_add_f16_e32 v94, v152, v113
	v_add_f16_e32 v99, v153, v100
	v_sub_f16_e32 v93, v114, v97
	v_add_f16_e32 v92, v97, v114
	v_sub_f16_e32 v95, v152, v113
	;; [unrolled: 2-line block ×3, first 2 shown]
	v_sub_f16_e32 v100, v153, v100
	v_add_f16_e32 v112, v151, v111
	v_add_f16_e32 v113, v155, v159
	v_sub_f16_e32 v114, v159, v155
	v_add_f16_e32 v116, v99, v94
	v_sub_f16_e32 v111, v151, v111
	;; [unrolled: 2-line block ×3, first 2 shown]
	v_sub_f16_e32 v118, v99, v94
	v_sub_f16_e32 v94, v94, v113
	;; [unrolled: 1-line block ×3, first 2 shown]
	v_add_f16_e32 v113, v113, v116
	v_add_f16_e32 v116, v112, v96
	;; [unrolled: 1-line block ×3, first 2 shown]
	v_sub_f16_e32 v129, v112, v96
	v_sub_f16_e32 v96, v96, v115
	;; [unrolled: 1-line block ×3, first 2 shown]
	v_add_f16_e32 v115, v115, v116
	v_sub_f16_e32 v116, v114, v100
	v_sub_f16_e32 v114, v95, v114
	;; [unrolled: 1-line block ×3, first 2 shown]
	v_add_f16_e32 v95, v130, v95
	v_add_f16_e32 v130, v117, v111
	v_mul_f16_e32 v94, 0x3a52, v94
	v_mul_f16_e32 v135, 0x2b26, v99
	v_sub_f16_e32 v134, v117, v111
	v_sub_f16_e32 v117, v97, v117
	;; [unrolled: 1-line block ×3, first 2 shown]
	v_add_f16_e32 v97, v130, v97
	v_fmamk_f16 v99, v99, 0x2b26, v94
	v_mul_f16_e32 v96, 0x3a52, v96
	v_mul_f16_e32 v130, 0x2b26, v112
	v_fma_f16 v135, v118, 0x39e0, -v135
	v_fma_f16 v118, v118, 0xb9e0, -v94
	v_mul_f16_e32 v94, 0xb846, v116
	v_fmamk_f16 v112, v112, 0x2b26, v96
	v_fma_f16 v116, v129, 0x39e0, -v130
	v_fma_f16 v96, v129, 0xb9e0, -v96
	v_mul_f16_e32 v129, 0x3b00, v100
	v_fma_f16 v100, v100, 0x3b00, -v94
	v_fmamk_f16 v130, v114, 0x3574, v94
	v_add_f16_e32 v45, v45, v113
	v_mul_f16_e32 v134, 0xb846, v134
	v_add_f16_e32 v94, v98, v115
	v_mul_f16_e32 v98, 0x3b00, v111
	v_fma_f16 v129, v114, 0xb574, -v129
	v_fmamk_f16 v113, v113, 0xbcab, v45
	v_fma_f16 v111, v111, 0x3b00, -v134
	v_fmamk_f16 v114, v115, 0xbcab, v94
	;; [unrolled: 2-line block ×3, first 2 shown]
	v_add_f16_e32 v99, v99, v113
	v_add_f16_e32 v115, v135, v113
	v_add_f16_e32 v113, v118, v113
	v_add_f16_e32 v116, v116, v114
	v_add_f16_e32 v118, v96, v114
	v_fmac_f16_e32 v111, 0x370e, v97
	v_fmac_f16_e32 v100, 0x370e, v95
	;; [unrolled: 1-line block ×4, first 2 shown]
	v_add_f16_e32 v112, v112, v114
	v_fmac_f16_e32 v130, 0x370e, v95
	v_fmac_f16_e32 v134, 0x370e, v97
	v_sub_f16_e32 v114, v115, v111
	v_add_f16_e32 v115, v111, v115
	v_add_f16_e32 v95, v100, v116
	v_sub_f16_e32 v96, v116, v100
	v_add_f16_e32 v117, v98, v113
	v_sub_f16_e32 v116, v113, v98
	v_sub_f16_e32 v98, v118, v129
	v_add_f16_e32 v97, v129, v118
	v_add_f16_e32 v111, v127, v143
	v_add_f16_e32 v129, v125, v131
	v_add_f16_e32 v118, v134, v99
	v_sub_f16_e32 v113, v99, v134
	v_sub_f16_e32 v100, v112, v130
	v_add_f16_e32 v99, v130, v112
	v_sub_f16_e32 v112, v127, v143
	v_add_f16_e32 v127, v109, v133
	;; [unrolled: 2-line block ×6, first 2 shown]
	v_sub_f16_e32 v101, v126, v101
	v_sub_f16_e32 v126, v129, v111
	v_sub_f16_e32 v111, v111, v131
	v_sub_f16_e32 v129, v131, v129
	v_add_f16_e32 v131, v131, v132
	v_add_f16_e32 v132, v130, v127
	;; [unrolled: 1-line block ×3, first 2 shown]
	v_sub_f16_e32 v133, v130, v127
	v_sub_f16_e32 v127, v127, v128
	;; [unrolled: 1-line block ×3, first 2 shown]
	v_add_f16_e32 v128, v128, v132
	v_sub_f16_e32 v132, v108, v125
	v_sub_f16_e32 v108, v112, v108
	;; [unrolled: 1-line block ×3, first 2 shown]
	v_add_f16_e32 v112, v134, v112
	v_add_f16_e32 v134, v101, v107
	v_sub_f16_e32 v135, v101, v107
	v_sub_f16_e32 v136, v109, v101
	v_mul_f16_e32 v101, 0x2b26, v129
	v_mul_f16_e32 v111, 0x3a52, v111
	v_sub_f16_e32 v107, v107, v109
	v_add_f16_e32 v109, v134, v109
	v_mul_f16_e32 v127, 0x3a52, v127
	v_mul_f16_e32 v134, 0x2b26, v130
	v_fma_f16 v137, v126, 0x39e0, -v101
	v_mul_f16_e32 v101, 0xb846, v132
	v_mul_f16_e32 v132, 0x3b00, v125
	v_fmamk_f16 v129, v129, 0x2b26, v111
	v_fma_f16 v111, v126, 0xb9e0, -v111
	v_fmamk_f16 v126, v130, 0x2b26, v127
	v_fma_f16 v130, v133, 0x39e0, -v134
	v_fma_f16 v127, v133, 0xb9e0, -v127
	;; [unrolled: 1-line block ×3, first 2 shown]
	v_fmamk_f16 v134, v108, 0x3574, v101
	v_add_f16_e32 v44, v44, v131
	v_mul_f16_e32 v125, 0xb846, v135
	v_fma_f16 v132, v108, 0xb574, -v132
	v_add_f16_e32 v101, v110, v128
	v_mul_f16_e32 v108, 0x3b00, v107
	v_fmamk_f16 v110, v131, 0xbcab, v44
	v_fma_f16 v107, v107, 0x3b00, -v125
	v_fmamk_f16 v135, v136, 0x3574, v125
	v_fmamk_f16 v125, v128, 0xbcab, v101
	v_fma_f16 v128, v136, 0xb574, -v108
	v_add_f16_e32 v136, v129, v110
	v_add_f16_e32 v108, v137, v110
	v_add_f16_e32 v110, v111, v110
	v_add_f16_e32 v129, v130, v125
	v_fmac_f16_e32 v107, 0x370e, v109
	v_fmac_f16_e32 v133, 0x370e, v112
	;; [unrolled: 1-line block ×3, first 2 shown]
	v_add_f16_e32 v111, v126, v125
	v_add_f16_e32 v130, v127, v125
	v_fmac_f16_e32 v134, 0x370e, v112
	v_fmac_f16_e32 v132, 0x370e, v112
	v_sub_f16_e32 v125, v108, v107
	v_add_f16_e32 v126, v107, v108
	v_add_f16_e32 v107, v133, v129
	v_sub_f16_e32 v108, v129, v133
	v_add_f16_e32 v129, v128, v110
	v_sub_f16_e32 v127, v110, v128
	v_add_f16_e32 v128, v105, v157
	v_add_f16_e32 v133, v104, v124
	v_fmac_f16_e32 v135, 0x370e, v109
	v_sub_f16_e32 v110, v130, v132
	v_add_f16_e32 v109, v132, v130
	v_sub_f16_e32 v112, v111, v134
	v_add_f16_e32 v111, v134, v111
	v_add_f16_e32 v132, v91, v156
	v_sub_f16_e32 v104, v104, v124
	v_add_f16_e32 v124, v90, v121
	v_sub_f16_e32 v90, v90, v121
	v_add_f16_e32 v121, v103, v106
	v_sub_f16_e32 v103, v106, v103
	v_add_f16_e32 v134, v133, v128
	v_add_f16_e32 v131, v135, v136
	v_sub_f16_e32 v130, v136, v135
	v_sub_f16_e32 v105, v105, v157
	v_add_f16_e32 v106, v88, v102
	v_sub_f16_e32 v88, v102, v88
	v_sub_f16_e32 v102, v133, v128
	v_sub_f16_e32 v128, v128, v121
	v_sub_f16_e32 v133, v121, v133
	v_add_f16_e32 v121, v121, v134
	v_add_f16_e32 v134, v124, v132
	;; [unrolled: 1-line block ×3, first 2 shown]
	v_sub_f16_e32 v91, v91, v156
	v_sub_f16_e32 v135, v124, v132
	;; [unrolled: 1-line block ×4, first 2 shown]
	v_add_f16_e32 v106, v106, v134
	v_sub_f16_e32 v134, v103, v104
	v_sub_f16_e32 v103, v105, v103
	;; [unrolled: 1-line block ×3, first 2 shown]
	v_add_f16_e32 v105, v136, v105
	v_add_f16_e32 v136, v88, v90
	v_mul_f16_e32 v128, 0x3a52, v128
	v_mul_f16_e32 v138, 0x2b26, v133
	v_sub_f16_e32 v137, v88, v90
	v_sub_f16_e32 v88, v91, v88
	v_sub_f16_e32 v90, v90, v91
	v_add_f16_e32 v91, v136, v91
	v_fmamk_f16 v133, v133, 0x2b26, v128
	v_mul_f16_e32 v132, 0x3a52, v132
	v_mul_f16_e32 v136, 0x2b26, v124
	v_fma_f16 v138, v102, 0x39e0, -v138
	v_fma_f16 v128, v102, 0xb9e0, -v128
	v_mul_f16_e32 v102, 0xb846, v134
	v_fmamk_f16 v124, v124, 0x2b26, v132
	v_fma_f16 v134, v135, 0x39e0, -v136
	v_fma_f16 v132, v135, 0xb9e0, -v132
	v_mul_f16_e32 v135, 0x3b00, v104
	v_fma_f16 v104, v104, 0x3b00, -v102
	v_fmamk_f16 v136, v103, 0x3574, v102
	v_add_f16_e32 v37, v37, v121
	v_mul_f16_e32 v137, 0xb846, v137
	v_add_f16_e32 v102, v89, v106
	v_mul_f16_e32 v89, 0x3b00, v90
	v_fma_f16 v135, v103, 0xb574, -v135
	v_fmamk_f16 v103, v121, 0xbcab, v37
	v_fma_f16 v90, v90, 0x3b00, -v137
	v_fmamk_f16 v121, v88, 0x3574, v137
	;; [unrolled: 2-line block ×3, first 2 shown]
	v_add_f16_e32 v89, v133, v103
	v_add_f16_e32 v133, v138, v103
	;; [unrolled: 1-line block ×3, first 2 shown]
	v_fmac_f16_e32 v90, 0x370e, v91
	v_fmac_f16_e32 v88, 0x370e, v91
	;; [unrolled: 1-line block ×3, first 2 shown]
	v_add_f16_e32 v137, v124, v106
	v_add_f16_e32 v124, v134, v106
	v_sub_f16_e32 v91, v133, v90
	v_add_f16_e32 v90, v90, v133
	v_add_f16_e32 v133, v88, v128
	v_sub_f16_e32 v88, v128, v88
	v_add_f16_e32 v128, v82, v123
	v_sub_f16_e32 v82, v82, v123
	;; [unrolled: 2-line block ×3, first 2 shown]
	v_add_f16_e32 v122, v83, v120
	v_add_f16_e32 v132, v132, v106
	v_fmac_f16_e32 v136, 0x370e, v105
	v_fmac_f16_e32 v104, 0x370e, v105
	;; [unrolled: 1-line block ×3, first 2 shown]
	v_sub_f16_e32 v83, v83, v120
	v_add_f16_e32 v120, v79, v119
	v_sub_f16_e32 v79, v79, v119
	v_add_f16_e32 v119, v81, v84
	;; [unrolled: 2-line block ×3, first 2 shown]
	v_add_f16_e32 v103, v104, v124
	v_sub_f16_e32 v104, v124, v104
	v_sub_f16_e32 v106, v132, v135
	v_add_f16_e32 v105, v135, v132
	v_add_f16_e32 v132, v121, v89
	v_sub_f16_e32 v89, v89, v121
	v_sub_f16_e32 v124, v137, v136
	v_add_f16_e32 v121, v136, v137
	v_add_f16_e32 v84, v77, v80
	v_sub_f16_e32 v77, v80, v77
	v_sub_f16_e32 v80, v122, v128
	;; [unrolled: 1-line block ×4, first 2 shown]
	v_add_f16_e32 v119, v119, v134
	v_add_f16_e32 v134, v120, v123
	;; [unrolled: 1-line block ×3, first 2 shown]
	v_sub_f16_e32 v135, v120, v123
	v_sub_f16_e32 v123, v123, v84
	;; [unrolled: 1-line block ×3, first 2 shown]
	v_add_f16_e32 v84, v84, v134
	v_sub_f16_e32 v134, v81, v83
	v_sub_f16_e32 v81, v82, v81
	;; [unrolled: 1-line block ×3, first 2 shown]
	v_add_f16_e32 v82, v136, v82
	v_add_f16_e32 v136, v77, v79
	v_sub_f16_e32 v137, v77, v79
	v_mul_f16_e32 v128, 0x3a52, v128
	v_sub_f16_e32 v77, v78, v77
	v_sub_f16_e32 v79, v79, v78
	v_mul_f16_e32 v138, 0x2b26, v122
	v_add_f16_e32 v78, v136, v78
	v_mul_f16_e32 v123, 0x3a52, v123
	v_mul_f16_e32 v136, 0x2b26, v120
	v_fmamk_f16 v122, v122, 0x2b26, v128
	v_fma_f16 v138, v80, 0x39e0, -v138
	v_fma_f16 v80, v80, 0xb9e0, -v128
	v_mul_f16_e32 v128, 0xb846, v134
	v_fmamk_f16 v120, v120, 0x2b26, v123
	v_fma_f16 v134, v135, 0x39e0, -v136
	v_fma_f16 v123, v135, 0xb9e0, -v123
	v_mul_f16_e32 v135, 0x3b00, v83
	v_fma_f16 v83, v83, 0x3b00, -v128
	v_fmamk_f16 v136, v81, 0x3574, v128
	v_add_f16_e32 v27, v27, v119
	v_mul_f16_e32 v128, 0xb846, v137
	v_fma_f16 v81, v81, 0xb574, -v135
	v_add_f16_e32 v135, v61, v84
	v_mul_f16_e32 v61, 0x3b00, v79
	v_fmamk_f16 v119, v119, 0xbcab, v27
	v_fma_f16 v79, v79, 0x3b00, -v128
	v_fmamk_f16 v137, v77, 0x3574, v128
	v_fmamk_f16 v84, v84, 0xbcab, v135
	v_fma_f16 v61, v77, 0xb574, -v61
	v_add_f16_e32 v77, v122, v119
	v_add_f16_e32 v122, v138, v119
	v_fmac_f16_e32 v79, 0x370e, v78
	v_add_f16_e32 v138, v120, v84
	v_add_f16_e32 v120, v134, v84
	;; [unrolled: 1-line block ×3, first 2 shown]
	v_fmac_f16_e32 v81, 0x370e, v82
	v_fmac_f16_e32 v136, 0x370e, v82
	;; [unrolled: 1-line block ×5, first 2 shown]
	v_sub_f16_e32 v78, v122, v79
	v_add_f16_e32 v79, v79, v122
	v_sub_f16_e32 v128, v84, v81
	v_add_f16_e32 v122, v81, v84
	v_add_f16_e32 v81, v76, v87
	;; [unrolled: 1-line block ×5, first 2 shown]
	v_sub_f16_e32 v120, v120, v83
	v_sub_f16_e32 v134, v138, v136
	v_add_f16_e32 v123, v136, v138
	v_add_f16_e32 v83, v71, v86
	v_sub_f16_e32 v71, v71, v86
	v_sub_f16_e32 v75, v75, v85
	v_add_f16_e32 v85, v74, v68
	v_sub_f16_e32 v68, v74, v68
	v_add_f16_e32 v74, v72, v73
	;; [unrolled: 2-line block ×3, first 2 shown]
	ds_read_u16 v138, v22
	v_sub_f16_e32 v76, v76, v87
	v_add_f16_e32 v73, v69, v70
	v_sub_f16_e32 v69, v70, v69
	v_sub_f16_e32 v70, v84, v81
	;; [unrolled: 1-line block ×4, first 2 shown]
	v_add_f16_e32 v74, v74, v86
	v_add_f16_e32 v86, v85, v83
	;; [unrolled: 1-line block ×3, first 2 shown]
	v_sub_f16_e32 v87, v85, v83
	v_sub_f16_e32 v83, v83, v73
	;; [unrolled: 1-line block ×3, first 2 shown]
	v_add_f16_e32 v73, v73, v86
	v_sub_f16_e32 v86, v72, v75
	v_sub_f16_e32 v72, v76, v72
	;; [unrolled: 1-line block ×3, first 2 shown]
	v_add_f16_e32 v76, v136, v76
	v_add_f16_e32 v136, v69, v68
	;; [unrolled: 1-line block ×3, first 2 shown]
	v_sub_f16_e32 v61, v80, v61
	v_add_f16_e32 v80, v137, v77
	v_sub_f16_e32 v77, v77, v137
	v_sub_f16_e32 v137, v69, v68
	v_mul_f16_e32 v81, 0x3a52, v81
	v_sub_f16_e32 v69, v71, v69
	v_sub_f16_e32 v68, v68, v71
	v_mul_f16_e32 v139, 0x2b26, v84
	v_add_f16_e32 v71, v136, v71
	v_mul_f16_e32 v83, 0x3a52, v83
	v_mul_f16_e32 v136, 0x2b26, v85
	v_fmamk_f16 v84, v84, 0x2b26, v81
	v_fma_f16 v139, v70, 0x39e0, -v139
	v_fma_f16 v70, v70, 0xb9e0, -v81
	v_mul_f16_e32 v81, 0xb846, v86
	v_fmamk_f16 v85, v85, 0x2b26, v83
	v_fma_f16 v86, v87, 0x39e0, -v136
	v_fma_f16 v83, v87, 0xb9e0, -v83
	v_mul_f16_e32 v87, 0x3b00, v75
	v_add_f16_e32 v25, v25, v74
	v_mul_f16_e32 v136, 0xb846, v137
	s_waitcnt lgkmcnt(0)
	v_add_f16_e32 v137, v138, v73
	v_fma_f16 v75, v75, 0x3b00, -v81
	v_fmamk_f16 v81, v72, 0x3574, v81
	v_fma_f16 v72, v72, 0xb574, -v87
	v_mul_f16_e32 v87, 0x3b00, v68
	v_fmamk_f16 v74, v74, 0xbcab, v25
	v_fmamk_f16 v73, v73, 0xbcab, v137
	v_fma_f16 v68, v68, 0x3b00, -v136
	v_fmamk_f16 v136, v69, 0x3574, v136
	v_fma_f16 v69, v69, 0xb574, -v87
	v_add_f16_e32 v84, v84, v74
	v_add_f16_e32 v87, v139, v74
	;; [unrolled: 1-line block ×6, first 2 shown]
	v_fmac_f16_e32 v81, 0x370e, v76
	v_fmac_f16_e32 v75, 0x370e, v76
	;; [unrolled: 1-line block ×3, first 2 shown]
	v_mov_b32_e32 v76, 0x62
	v_mov_b32_e32 v83, 1
	v_fmac_f16_e32 v68, 0x370e, v71
	v_fmac_f16_e32 v136, 0x370e, v71
	;; [unrolled: 1-line block ×3, first 2 shown]
	v_mul_u32_u24_sdwa v35, v35, v76 dst_sel:DWORD dst_unused:UNUSED_PAD src0_sel:WORD_0 src1_sel:DWORD
	v_lshlrev_b32_sdwa v36, v83, v36 dst_sel:DWORD dst_unused:UNUSED_PAD src0_sel:DWORD src1_sel:BYTE_0
	v_mul_u32_u24_sdwa v0, v0, v76 dst_sel:DWORD dst_unused:UNUSED_PAD src0_sel:WORD_0 src1_sel:DWORD
	v_lshlrev_b32_sdwa v2, v83, v2 dst_sel:DWORD dst_unused:UNUSED_PAD src0_sel:DWORD src1_sel:BYTE_0
	v_mul_u32_u24_sdwa v1, v1, v76 dst_sel:DWORD dst_unused:UNUSED_PAD src0_sel:WORD_0 src1_sel:DWORD
	v_add3_u32 v35, 0, v35, v36
	v_mul_u32_u24_sdwa v36, v38, v76 dst_sel:DWORD dst_unused:UNUSED_PAD src0_sel:WORD_0 src1_sel:DWORD
	v_lshlrev_b32_sdwa v38, v83, v39 dst_sel:DWORD dst_unused:UNUSED_PAD src0_sel:DWORD src1_sel:BYTE_0
	v_lshlrev_b32_sdwa v39, v83, v43 dst_sel:DWORD dst_unused:UNUSED_PAD src0_sel:DWORD src1_sel:BYTE_0
	v_add3_u32 v0, 0, v0, v2
	v_lshlrev_b32_sdwa v2, v83, v12 dst_sel:DWORD dst_unused:UNUSED_PAD src0_sel:DWORD src1_sel:WORD_0
	s_barrier
	v_add3_u32 v38, 0, v36, v38
	v_mul_u32_u24_sdwa v36, v40, v76 dst_sel:DWORD dst_unused:UNUSED_PAD src0_sel:WORD_0 src1_sel:DWORD
	v_lshlrev_b32_sdwa v40, v83, v42 dst_sel:DWORD dst_unused:UNUSED_PAD src0_sel:DWORD src1_sel:BYTE_0
	v_add3_u32 v1, 0, v1, v2
	v_mul_u32_u24_sdwa v2, v3, v76 dst_sel:DWORD dst_unused:UNUSED_PAD src0_sel:WORD_0 src1_sel:DWORD
	v_lshlrev_b32_sdwa v3, v83, v8 dst_sel:DWORD dst_unused:UNUSED_PAD src0_sel:DWORD src1_sel:WORD_0
	v_add3_u32 v39, 0, v36, v39
	v_mul_u32_u24_sdwa v36, v41, v76 dst_sel:DWORD dst_unused:UNUSED_PAD src0_sel:WORD_0 src1_sel:DWORD
	buffer_gl0_inv
	ds_write_b16 v35, v47
	ds_write_b16 v35, v60 offset:14
	ds_write_b16 v35, v59 offset:28
	;; [unrolled: 1-line block ×6, first 2 shown]
	ds_write_b16 v38, v46
	ds_write_b16 v38, v67 offset:14
	ds_write_b16 v38, v66 offset:28
	;; [unrolled: 1-line block ×6, first 2 shown]
	ds_write_b16 v39, v45
	ds_write_b16 v39, v118 offset:14
	ds_write_b16 v39, v117 offset:28
	;; [unrolled: 1-line block ×4, first 2 shown]
	v_add3_u32 v114, 0, v36, v40
	v_sub_f16_e32 v71, v87, v68
	v_add_f16_e32 v68, v68, v87
	v_add_f16_e32 v138, v75, v85
	v_sub_f16_e32 v139, v85, v75
	v_add_f16_e32 v75, v69, v70
	v_sub_f16_e32 v69, v70, v69
	v_sub_f16_e32 v140, v73, v72
	v_add_f16_e32 v141, v72, v73
	v_add_f16_e32 v70, v136, v84
	v_sub_f16_e32 v72, v84, v136
	v_add3_u32 v2, 0, v2, v3
	v_sub_f16_e32 v136, v74, v81
	v_add_f16_e32 v142, v81, v74
	ds_write_b16 v39, v116 offset:70
	ds_write_b16 v39, v113 offset:84
	ds_write_b16 v114, v44
	ds_write_b16 v114, v131 offset:14
	ds_write_b16 v114, v129 offset:28
	ds_write_b16 v114, v125 offset:42
	ds_write_b16 v114, v126 offset:56
	ds_write_b16 v114, v127 offset:70
	ds_write_b16 v114, v130 offset:84
	ds_write_b16 v0, v37
	ds_write_b16 v0, v132 offset:14
	ds_write_b16 v0, v133 offset:28
	ds_write_b16 v0, v91 offset:42
	ds_write_b16 v0, v90 offset:56
	;; [unrolled: 7-line block ×4, first 2 shown]
	ds_write_b16 v2, v69 offset:70
	ds_write_b16 v2, v72 offset:84
	s_waitcnt lgkmcnt(0)
	s_barrier
	buffer_gl0_inv
	ds_read_u16 v69, v30 offset:3626
	ds_read_u16 v68, v30 offset:4312
	;; [unrolled: 1-line block ×3, first 2 shown]
	ds_read_u16 v37, v32
	ds_read_u16 v36, v33
	;; [unrolled: 1-line block ×3, first 2 shown]
	ds_read_u16 v86, v30 offset:1372
	ds_read_u16 v84, v30 offset:1470
	;; [unrolled: 1-line block ×20, first 2 shown]
	ds_read_u16 v25, v22
	ds_read_u16 v42, v30
	ds_read_u16 v91, v30 offset:686
	ds_read_u16 v88, v30 offset:784
	;; [unrolled: 1-line block ×18, first 2 shown]
	ds_read_u16 v40, v31
	ds_read_u16 v41, v29
	ds_read_u16 v44, v30 offset:4704
	s_waitcnt lgkmcnt(0)
	s_barrier
	buffer_gl0_inv
	ds_write_b16 v35, v4
	ds_write_b16 v35, v11 offset:14
	ds_write_b16 v35, v9 offset:28
	ds_write_b16 v35, v5 offset:42
	ds_write_b16 v35, v6 offset:56
	ds_write_b16 v35, v7 offset:70
	ds_write_b16 v35, v10 offset:84
	ds_write_b16 v38, v13
	ds_write_b16 v38, v93 offset:14
	ds_write_b16 v38, v21 offset:28
	ds_write_b16 v38, v14 offset:42
	ds_write_b16 v38, v15 offset:56
	ds_write_b16 v38, v20 offset:70
	ds_write_b16 v38, v92 offset:84
	ds_write_b16 v39, v94
	ds_write_b16 v39, v100 offset:14
	ds_write_b16 v39, v98 offset:28
	ds_write_b16 v39, v95 offset:42
	ds_write_b16 v39, v96 offset:56
	ds_write_b16 v39, v97 offset:70
	ds_write_b16 v39, v99 offset:84
	ds_write_b16 v114, v101
	ds_write_b16 v114, v112 offset:14
	ds_write_b16 v114, v110 offset:28
	ds_write_b16 v114, v107 offset:42
	ds_write_b16 v114, v108 offset:56
	ds_write_b16 v114, v109 offset:70
	ds_write_b16 v114, v111 offset:84
	ds_write_b16 v0, v102
	ds_write_b16 v0, v124 offset:14
	ds_write_b16 v0, v106 offset:28
	ds_write_b16 v0, v103 offset:42
	ds_write_b16 v0, v104 offset:56
	ds_write_b16 v0, v105 offset:70
	ds_write_b16 v0, v121 offset:84
	ds_write_b16 v1, v135
	ds_write_b16 v1, v134 offset:14
	v_mul_lo_u16 v0, 0x4f, v24
	ds_write_b16 v1, v128 offset:28
	ds_write_b16 v1, v119 offset:42
	;; [unrolled: 1-line block ×5, first 2 shown]
	ds_write_b16 v2, v137
	ds_write_b16 v2, v136 offset:14
	ds_write_b16 v2, v140 offset:28
	v_mul_u32_u24_e32 v1, 6, v52
	ds_write_b16 v2, v138 offset:42
	v_lshrrev_b16 v4, 8, v0
	ds_write_b16 v2, v139 offset:56
	ds_write_b16 v2, v141 offset:70
	;; [unrolled: 1-line block ×3, first 2 shown]
	v_lshlrev_b32_e32 v35, 2, v1
	s_waitcnt lgkmcnt(0)
	v_sub_nc_u16 v0, v54, v4
	s_barrier
	buffer_gl0_inv
	v_mul_lo_u16 v11, 0x4f, v26
	v_mov_b32_e32 v38, 0x4e5f
	v_lshrrev_b16 v0, 1, v0
	global_load_dwordx2 v[12:13], v35, s[12:13] offset:184
	v_mul_u32_u24_sdwa v26, v58, v38 dst_sel:DWORD dst_unused:UNUSED_PAD src0_sel:WORD_0 src1_sel:DWORD
	v_and_b32_e32 v5, 0x7f, v0
	global_load_dwordx4 v[0:3], v35, s[12:13] offset:168
	v_mul_u32_u24_sdwa v38, v57, v38 dst_sel:DWORD dst_unused:UNUSED_PAD src0_sel:WORD_0 src1_sel:DWORD
	v_lshrrev_b32_e32 v39, 16, v26
	v_add_nc_u16 v4, v5, v4
	v_mul_lo_u16 v5, 0x4f, v23
	v_lshrrev_b32_e32 v98, 16, v38
	v_sub_nc_u16 v92, v58, v39
	v_lshrrev_b16 v4, 5, v4
	v_lshrrev_b16 v9, 8, v5
	;; [unrolled: 1-line block ×3, first 2 shown]
	v_mul_lo_u16 v4, v4, 49
	v_sub_nc_u16 v10, v55, v9
	v_add_nc_u16 v39, v92, v39
	v_sub_nc_u16 v4, v54, v4
	v_lshrrev_b16 v10, 1, v10
	v_lshrrev_b16 v39, 5, v39
	v_and_b32_e32 v24, 0xff, v4
	v_and_b32_e32 v10, 0x7f, v10
	v_mul_lo_u16 v38, v39, 49
	v_mul_u32_u24_e32 v4, 6, v24
	v_add_nc_u16 v9, v10, v9
	v_lshrrev_b16 v10, 8, v11
	v_sub_nc_u16 v39, v57, v98
	v_sub_nc_u16 v38, v58, v38
	v_lshlrev_b32_e32 v8, 2, v4
	v_lshrrev_b16 v9, 5, v9
	v_sub_nc_u16 v11, v56, v10
	v_lshrrev_b16 v39, 1, v39
	v_and_b32_e32 v38, 0xffff, v38
	s_clause 0x1
	global_load_dwordx4 v[4:7], v8, s[12:13] offset:168
	global_load_dwordx2 v[14:15], v8, s[12:13] offset:184
	v_lshrrev_b16 v11, 1, v11
	v_mul_lo_u16 v9, v9, 49
	v_add_nc_u16 v39, v39, v98
	v_mul_u32_u24_e32 v98, 6, v38
	v_and_b32_e32 v11, 0x7f, v11
	v_sub_nc_u16 v9, v55, v9
	v_lshrrev_b16 v39, 5, v39
	v_lshlrev_b32_e32 v98, 2, v98
	v_add_nc_u16 v8, v11, v10
	v_and_b32_e32 v23, 0xff, v9
	v_mul_lo_u16 v39, v39, 49
	s_clause 0x1
	global_load_dwordx4 v[122:125], v98, s[12:13] offset:168
	global_load_dwordx2 v[130:131], v98, s[12:13] offset:184
	v_lshrrev_b16 v8, 5, v8
	v_mul_u32_u24_e32 v9, 6, v23
	v_sub_nc_u16 v39, v57, v39
	v_mul_lo_u16 v21, v8, 49
	v_lshlrev_b32_e32 v20, 2, v9
	v_and_b32_e32 v39, 0xffff, v39
	v_sub_nc_u16 v21, v56, v21
	global_load_dwordx4 v[8:11], v20, s[12:13] offset:168
	v_mul_u32_u24_e32 v99, 6, v39
	v_and_b32_e32 v26, 0xff, v21
	global_load_dwordx2 v[20:21], v20, s[12:13] offset:184
	v_lshlrev_b32_e32 v98, 2, v99
	v_mul_u32_u24_e32 v93, 6, v26
	v_lshlrev_b32_e32 v96, 2, v93
	s_clause 0x3
	global_load_dwordx4 v[92:95], v96, s[12:13] offset:168
	global_load_dwordx2 v[96:97], v96, s[12:13] offset:184
	global_load_dwordx4 v[126:129], v98, s[12:13] offset:168
	global_load_dwordx2 v[132:133], v98, s[12:13] offset:184
	ds_read_u16 v98, v30 offset:686
	ds_read_u16 v99, v30 offset:2058
	;; [unrolled: 1-line block ×20, first 2 shown]
	ds_read_u16 v137, v30
	ds_read_u16 v116, v30 offset:2156
	ds_read_u16 v117, v30 offset:2254
	ds_read_u16 v118, v30 offset:2352
	ds_read_u16 v139, v30 offset:2450
	ds_read_u16 v140, v30 offset:2548
	ds_read_u16 v141, v30 offset:1960
	ds_read_u16 v142, v30 offset:2646
	s_waitcnt vmcnt(11)
	v_mul_f16_sdwa v160, v82, v12 dst_sel:DWORD dst_unused:UNUSED_PAD src0_sel:DWORD src1_sel:WORD_1
	v_mul_f16_sdwa v161, v81, v13 dst_sel:DWORD dst_unused:UNUSED_PAD src0_sel:DWORD src1_sel:WORD_1
	;; [unrolled: 1-line block ×4, first 2 shown]
	s_waitcnt vmcnt(10) lgkmcnt(24)
	v_mul_f16_sdwa v119, v101, v3 dst_sel:DWORD dst_unused:UNUSED_PAD src0_sel:DWORD src1_sel:WORD_1
	v_mul_f16_sdwa v115, v98, v0 dst_sel:DWORD dst_unused:UNUSED_PAD src0_sel:DWORD src1_sel:WORD_1
	;; [unrolled: 1-line block ×5, first 2 shown]
	v_fma_f16 v145, v90, v3, -v119
	s_waitcnt lgkmcnt(13)
	v_mul_f16_sdwa v90, v110, v0 dst_sel:DWORD dst_unused:UNUSED_PAD src0_sel:DWORD src1_sel:WORD_1
	v_fma_f16 v143, v91, v0, -v115
	v_fmac_f16_e32 v138, v98, v0
	v_mul_f16_sdwa v91, v106, v1 dst_sel:DWORD dst_unused:UNUSED_PAD src0_sel:DWORD src1_sel:WORD_1
	v_fmac_f16_e32 v147, v110, v0
	v_fma_f16 v88, v88, v0, -v90
	s_waitcnt lgkmcnt(6)
	v_mul_f16_sdwa v0, v116, v2 dst_sel:DWORD dst_unused:UNUSED_PAD src0_sel:DWORD src1_sel:WORD_1
	ds_read_u16 v90, v30 offset:2940
	v_mul_f16_sdwa v98, v86, v1 dst_sel:DWORD dst_unused:UNUSED_PAD src0_sel:DWORD src1_sel:WORD_1
	v_fma_f16 v86, v86, v1, -v91
	v_mul_f16_sdwa v91, v107, v1 dst_sel:DWORD dst_unused:UNUSED_PAD src0_sel:DWORD src1_sel:WORD_1
	v_mul_f16_sdwa v148, v84, v1 dst_sel:DWORD dst_unused:UNUSED_PAD src0_sel:DWORD src1_sel:WORD_1
	v_fma_f16 v151, v83, v2, -v0
	v_mul_f16_sdwa v115, v99, v2 dst_sel:DWORD dst_unused:UNUSED_PAD src0_sel:DWORD src1_sel:WORD_1
	v_mul_f16_sdwa v144, v89, v2 dst_sel:DWORD dst_unused:UNUSED_PAD src0_sel:DWORD src1_sel:WORD_1
	v_fmac_f16_e32 v98, v106, v1
	v_fma_f16 v84, v84, v1, -v91
	v_fmac_f16_e32 v148, v107, v1
	v_mul_f16_sdwa v149, v83, v2 dst_sel:DWORD dst_unused:UNUSED_PAD src0_sel:DWORD src1_sel:WORD_1
	v_mul_f16_sdwa v1, v102, v3 dst_sel:DWORD dst_unused:UNUSED_PAD src0_sel:DWORD src1_sel:WORD_1
	v_mul_f16_sdwa v150, v87, v3 dst_sel:DWORD dst_unused:UNUSED_PAD src0_sel:DWORD src1_sel:WORD_1
	v_fma_f16 v89, v89, v2, -v115
	v_fmac_f16_e32 v144, v99, v2
	v_fmac_f16_e32 v146, v101, v3
	v_fmac_f16_e32 v149, v116, v2
	v_fma_f16 v87, v87, v3, -v1
	v_fmac_f16_e32 v150, v102, v3
	ds_read_u16 v1, v30 offset:3038
	ds_read_u16 v2, v30 offset:3136
	;; [unrolled: 1-line block ×4, first 2 shown]
	v_fmac_f16_e32 v160, v103, v12
	v_fmac_f16_e32 v161, v100, v13
	;; [unrolled: 1-line block ×3, first 2 shown]
	s_waitcnt vmcnt(9)
	v_mul_f16_sdwa v0, v111, v4 dst_sel:DWORD dst_unused:UNUSED_PAD src0_sel:DWORD src1_sel:WORD_1
	s_waitcnt lgkmcnt(10)
	v_mul_f16_sdwa v83, v117, v6 dst_sel:DWORD dst_unused:UNUSED_PAD src0_sel:DWORD src1_sel:WORD_1
	v_mul_f16_sdwa v156, v77, v6 dst_sel:DWORD dst_unused:UNUSED_PAD src0_sel:DWORD src1_sel:WORD_1
	;; [unrolled: 1-line block ×4, first 2 shown]
	v_fma_f16 v152, v85, v4, -v0
	v_mul_f16_sdwa v0, v108, v5 dst_sel:DWORD dst_unused:UNUSED_PAD src0_sel:DWORD src1_sel:WORD_1
	v_mul_f16_sdwa v85, v85, v4 dst_sel:DWORD dst_unused:UNUSED_PAD src0_sel:DWORD src1_sel:WORD_1
	v_fma_f16 v158, v77, v6, -v83
	v_fmac_f16_e32 v156, v117, v6
	s_waitcnt lgkmcnt(4)
	v_fmac_f16_e32 v157, v90, v7
	v_fma_f16 v155, v76, v5, -v0
	ds_read_u16 v0, v30 offset:4214
	v_fmac_f16_e32 v85, v111, v4
	v_mul_f16_sdwa v4, v90, v7 dst_sel:DWORD dst_unused:UNUSED_PAD src0_sel:DWORD src1_sel:WORD_1
	v_mul_f16_sdwa v76, v100, v13 dst_sel:DWORD dst_unused:UNUSED_PAD src0_sel:DWORD src1_sel:WORD_1
	v_fmac_f16_e32 v153, v108, v5
	v_mul_f16_sdwa v5, v103, v12 dst_sel:DWORD dst_unused:UNUSED_PAD src0_sel:DWORD src1_sel:WORD_1
	v_mul_f16_sdwa v77, v104, v12 dst_sel:DWORD dst_unused:UNUSED_PAD src0_sel:DWORD src1_sel:WORD_1
	v_fma_f16 v159, v78, v7, -v4
	ds_read_u16 v4, v30 offset:4312
	ds_read_u16 v6, v30 offset:4410
	;; [unrolled: 1-line block ×3, first 2 shown]
	v_fma_f16 v162, v81, v13, -v76
	v_fma_f16 v5, v82, v12, -v5
	v_fma_f16 v165, v79, v12, -v77
	s_waitcnt vmcnt(8)
	v_mul_f16_sdwa v166, v69, v14 dst_sel:DWORD dst_unused:UNUSED_PAD src0_sel:DWORD src1_sel:WORD_1
	v_mul_f16_sdwa v167, v68, v15 dst_sel:DWORD dst_unused:UNUSED_PAD src0_sel:DWORD src1_sel:WORD_1
	s_waitcnt vmcnt(6)
	v_mul_f16_sdwa v81, v45, v131 dst_sel:DWORD dst_unused:UNUSED_PAD src0_sel:DWORD src1_sel:WORD_1
	v_mul_f16_sdwa v79, v59, v130 dst_sel:DWORD dst_unused:UNUSED_PAD src0_sel:DWORD src1_sel:WORD_1
	s_waitcnt vmcnt(5)
	v_mul_f16_sdwa v100, v75, v8 dst_sel:DWORD dst_unused:UNUSED_PAD src0_sel:DWORD src1_sel:WORD_1
	v_fmac_f16_e32 v166, v105, v14
	v_mul_f16_sdwa v116, v73, v11 dst_sel:DWORD dst_unused:UNUSED_PAD src0_sel:DWORD src1_sel:WORD_1
	v_mul_f16_sdwa v101, v71, v9 dst_sel:DWORD dst_unused:UNUSED_PAD src0_sel:DWORD src1_sel:WORD_1
	s_waitcnt lgkmcnt(3)
	v_mul_f16_sdwa v76, v0, v13 dst_sel:DWORD dst_unused:UNUSED_PAD src0_sel:DWORD src1_sel:WORD_1
	v_fmac_f16_e32 v164, v0, v13
	v_fmac_f16_e32 v100, v113, v8
	;; [unrolled: 1-line block ×3, first 2 shown]
	s_waitcnt vmcnt(4)
	v_mul_f16_sdwa v120, v61, v21 dst_sel:DWORD dst_unused:UNUSED_PAD src0_sel:DWORD src1_sel:WORD_1
	v_fma_f16 v12, v80, v13, -v76
	ds_read_u16 v13, v30 offset:3724
	s_waitcnt lgkmcnt(3)
	v_mul_f16_sdwa v0, v4, v15 dst_sel:DWORD dst_unused:UNUSED_PAD src0_sel:DWORD src1_sel:WORD_1
	v_mul_f16_sdwa v76, v105, v14 dst_sel:DWORD dst_unused:UNUSED_PAD src0_sel:DWORD src1_sel:WORD_1
	v_fmac_f16_e32 v167, v4, v15
	v_fmac_f16_e32 v101, v109, v9
	s_waitcnt lgkmcnt(2)
	v_fmac_f16_e32 v120, v6, v21
	v_fma_f16 v169, v68, v15, -v0
	v_mul_f16_sdwa v0, v113, v8 dst_sel:DWORD dst_unused:UNUSED_PAD src0_sel:DWORD src1_sel:WORD_1
	v_fma_f16 v168, v69, v14, -v76
	ds_read_u16 v4, v30 offset:3822
	ds_read_u16 v14, v30 offset:3920
	v_mul_f16_sdwa v15, v109, v9 dst_sel:DWORD dst_unused:UNUSED_PAD src0_sel:DWORD src1_sel:WORD_1
	s_waitcnt vmcnt(3)
	v_mul_f16_sdwa v105, v74, v92 dst_sel:DWORD dst_unused:UNUSED_PAD src0_sel:DWORD src1_sel:WORD_1
	v_fma_f16 v103, v75, v8, -v0
	v_mul_f16_sdwa v0, v118, v10 dst_sel:DWORD dst_unused:UNUSED_PAD src0_sel:DWORD src1_sel:WORD_1
	v_mul_f16_sdwa v8, v1, v11 dst_sel:DWORD dst_unused:UNUSED_PAD src0_sel:DWORD src1_sel:WORD_1
	;; [unrolled: 1-line block ×3, first 2 shown]
	v_fma_f16 v107, v71, v9, -v15
	v_mul_f16_sdwa v91, v65, v93 dst_sel:DWORD dst_unused:UNUSED_PAD src0_sel:DWORD src1_sel:WORD_1
	v_fma_f16 v110, v72, v10, -v0
	v_fma_f16 v117, v73, v11, -v8
	s_waitcnt lgkmcnt(2)
	v_mul_f16_sdwa v0, v13, v20 dst_sel:DWORD dst_unused:UNUSED_PAD src0_sel:DWORD src1_sel:WORD_1
	v_fma_f16 v121, v61, v21, -v1
	v_mul_f16_sdwa v1, v112, v93 dst_sel:DWORD dst_unused:UNUSED_PAD src0_sel:DWORD src1_sel:WORD_1
	ds_read_u16 v8, v30 offset:4508
	v_fmac_f16_e32 v105, v114, v92
	v_fma_f16 v119, v70, v20, -v0
	v_mul_f16_sdwa v0, v114, v92 dst_sel:DWORD dst_unused:UNUSED_PAD src0_sel:DWORD src1_sel:WORD_1
	v_fma_f16 v108, v65, v93, -v1
	v_mul_f16_sdwa v1, v2, v95 dst_sel:DWORD dst_unused:UNUSED_PAD src0_sel:DWORD src1_sel:WORD_1
	v_mul_f16_sdwa v104, v67, v95 dst_sel:DWORD dst_unused:UNUSED_PAD src0_sel:DWORD src1_sel:WORD_1
	;; [unrolled: 1-line block ×3, first 2 shown]
	v_fma_f16 v111, v74, v92, -v0
	v_mul_f16_sdwa v0, v139, v94 dst_sel:DWORD dst_unused:UNUSED_PAD src0_sel:DWORD src1_sel:WORD_1
	v_fma_f16 v109, v67, v95, -v1
	ds_read_u16 v99, v32
	ds_read_u16 v83, v33
	;; [unrolled: 1-line block ×3, first 2 shown]
	ds_read_u16 v1, v30 offset:4606
	ds_read_u16 v6, v30 offset:4704
	ds_read_u16 v92, v31
	ds_read_u16 v9, v29
	v_fmac_f16_e32 v104, v2, v95
	v_mul_f16_sdwa v2, v134, v123 dst_sel:DWORD dst_unused:UNUSED_PAD src0_sel:DWORD src1_sel:WORD_1
	v_fma_f16 v106, v66, v94, -v0
	s_waitcnt vmcnt(2) lgkmcnt(9)
	v_mul_f16_sdwa v0, v4, v96 dst_sel:DWORD dst_unused:UNUSED_PAD src0_sel:DWORD src1_sel:WORD_1
	v_fmac_f16_e32 v102, v118, v10
	v_fmac_f16_e32 v91, v112, v93
	v_fma_f16 v75, v50, v123, -v2
	v_mul_f16_sdwa v2, v3, v125 dst_sel:DWORD dst_unused:UNUSED_PAD src0_sel:DWORD src1_sel:WORD_1
	v_fma_f16 v113, v63, v96, -v0
	v_mul_f16_sdwa v0, v135, v122 dst_sel:DWORD dst_unused:UNUSED_PAD src0_sel:DWORD src1_sel:WORD_1
	v_mul_f16_sdwa v112, v63, v96 dst_sel:DWORD dst_unused:UNUSED_PAD src0_sel:DWORD src1_sel:WORD_1
	s_waitcnt lgkmcnt(7)
	v_mul_f16_sdwa v10, v8, v97 dst_sel:DWORD dst_unused:UNUSED_PAD src0_sel:DWORD src1_sel:WORD_1
	v_mul_f16_sdwa v71, v50, v123 dst_sel:DWORD dst_unused:UNUSED_PAD src0_sel:DWORD src1_sel:WORD_1
	v_fma_f16 v77, v51, v125, -v2
	v_fma_f16 v78, v64, v122, -v0
	v_mul_f16_sdwa v0, v140, v124 dst_sel:DWORD dst_unused:UNUSED_PAD src0_sel:DWORD src1_sel:WORD_1
	s_waitcnt lgkmcnt(3)
	v_fmac_f16_e32 v81, v1, v131
	s_waitcnt vmcnt(1)
	v_mul_f16_sdwa v2, v136, v126 dst_sel:DWORD dst_unused:UNUSED_PAD src0_sel:DWORD src1_sel:WORD_1
	v_mul_f16_sdwa v50, v47, v127 dst_sel:DWORD dst_unused:UNUSED_PAD src0_sel:DWORD src1_sel:WORD_1
	v_mul_f16_sdwa v118, v70, v20 dst_sel:DWORD dst_unused:UNUSED_PAD src0_sel:DWORD src1_sel:WORD_1
	v_fma_f16 v76, v46, v124, -v0
	v_mul_f16_sdwa v0, v14, v130 dst_sel:DWORD dst_unused:UNUSED_PAD src0_sel:DWORD src1_sel:WORD_1
	v_fmac_f16_e32 v112, v4, v96
	v_mul_f16_sdwa v114, v62, v97 dst_sel:DWORD dst_unused:UNUSED_PAD src0_sel:DWORD src1_sel:WORD_1
	v_fma_f16 v115, v62, v97, -v10
	v_mul_f16_sdwa v72, v46, v124 dst_sel:DWORD dst_unused:UNUSED_PAD src0_sel:DWORD src1_sel:WORD_1
	v_fma_f16 v80, v59, v130, -v0
	v_mul_f16_sdwa v0, v1, v131 dst_sel:DWORD dst_unused:UNUSED_PAD src0_sel:DWORD src1_sel:WORD_1
	v_mul_f16_sdwa v1, v142, v128 dst_sel:DWORD dst_unused:UNUSED_PAD src0_sel:DWORD src1_sel:WORD_1
	;; [unrolled: 1-line block ×4, first 2 shown]
	v_fma_f16 v51, v60, v126, -v2
	v_fma_f16 v82, v45, v131, -v0
	v_mul_f16_sdwa v0, v141, v127 dst_sel:DWORD dst_unused:UNUSED_PAD src0_sel:DWORD src1_sel:WORD_1
	v_mul_f16_sdwa v45, v48, v128 dst_sel:DWORD dst_unused:UNUSED_PAD src0_sel:DWORD src1_sel:WORD_1
	s_waitcnt vmcnt(0)
	v_mul_f16_sdwa v60, v43, v132 dst_sel:DWORD dst_unused:UNUSED_PAD src0_sel:DWORD src1_sel:WORD_1
	v_mul_f16_sdwa v61, v44, v133 dst_sel:DWORD dst_unused:UNUSED_PAD src0_sel:DWORD src1_sel:WORD_1
	v_add_f16_e32 v4, v86, v5
	v_fma_f16 v59, v47, v127, -v0
	v_mul_f16_sdwa v0, v154, v129 dst_sel:DWORD dst_unused:UNUSED_PAD src0_sel:DWORD src1_sel:WORD_1
	v_fma_f16 v47, v48, v128, -v1
	v_mul_f16_sdwa v48, v49, v129 dst_sel:DWORD dst_unused:UNUSED_PAD src0_sel:DWORD src1_sel:WORD_1
	s_waitcnt lgkmcnt(2)
	v_mul_f16_sdwa v1, v6, v133 dst_sel:DWORD dst_unused:UNUSED_PAD src0_sel:DWORD src1_sel:WORD_1
	v_fmac_f16_e32 v118, v13, v20
	v_fma_f16 v49, v49, v129, -v0
	v_mul_f16_sdwa v0, v7, v132 dst_sel:DWORD dst_unused:UNUSED_PAD src0_sel:DWORD src1_sel:WORD_1
	v_fmac_f16_e32 v114, v8, v97
	v_fmac_f16_e32 v79, v14, v130
	;; [unrolled: 1-line block ×3, first 2 shown]
	v_fma_f16 v63, v44, v133, -v1
	v_fma_f16 v62, v43, v132, -v0
	v_add_f16_e32 v0, v143, v162
	v_fmac_f16_e32 v61, v6, v133
	v_add_f16_e32 v1, v138, v161
	v_add_f16_e32 v6, v98, v160
	v_sub_f16_e32 v7, v98, v160
	v_add_f16_e32 v8, v89, v145
	v_add_f16_e32 v10, v144, v146
	v_sub_f16_e32 v13, v146, v144
	v_add_f16_e32 v14, v4, v0
	v_fmac_f16_e32 v73, v3, v125
	v_sub_f16_e32 v2, v143, v162
	v_sub_f16_e32 v3, v138, v161
	;; [unrolled: 1-line block ×4, first 2 shown]
	v_add_f16_e32 v15, v6, v1
	v_sub_f16_e32 v20, v4, v0
	v_sub_f16_e32 v21, v6, v1
	;; [unrolled: 1-line block ×6, first 2 shown]
	v_add_f16_e32 v44, v13, v7
	v_add_f16_e32 v14, v8, v14
	v_mul_f16_sdwa v74, v64, v122 dst_sel:DWORD dst_unused:UNUSED_PAD src0_sel:DWORD src1_sel:WORD_1
	v_add_f16_e32 v0, v11, v5
	v_sub_f16_e32 v64, v11, v5
	v_add_f16_e32 v10, v10, v15
	v_sub_f16_e32 v15, v13, v7
	v_sub_f16_e32 v13, v3, v13
	;; [unrolled: 1-line block ×4, first 2 shown]
	v_add_f16_e32 v3, v44, v3
	v_add_f16_e32 v8, v42, v14
	v_mul_f16_e32 v42, 0x3a52, v43
	v_mul_f16_e32 v1, 0x3a52, v1
	;; [unrolled: 1-line block ×4, first 2 shown]
	v_sub_f16_e32 v11, v2, v11
	v_add_f16_e32 v2, v0, v2
	v_add_f16_e32 v0, v137, v10
	v_mul_f16_e32 v64, 0xb846, v64
	v_mul_f16_e32 v15, 0xb846, v15
	v_fmamk_f16 v4, v4, 0x2b26, v42
	v_fma_f16 v43, v20, 0x39e0, -v43
	v_fma_f16 v20, v20, 0xb9e0, -v42
	v_mul_f16_e32 v42, 0x3b00, v5
	v_fmamk_f16 v6, v6, 0x2b26, v1
	v_fma_f16 v44, v21, 0x39e0, -v44
	v_fma_f16 v1, v21, 0xb9e0, -v1
	v_mul_f16_e32 v21, 0x3b00, v7
	v_mul_f16_sdwa v90, v66, v94 dst_sel:DWORD dst_unused:UNUSED_PAD src0_sel:DWORD src1_sel:WORD_1
	v_fmamk_f16 v14, v14, 0xbcab, v8
	v_fmamk_f16 v10, v10, 0xbcab, v0
	v_fma_f16 v5, v5, 0x3b00, -v64
	v_fmamk_f16 v64, v11, 0x3574, v64
	v_fma_f16 v7, v7, 0x3b00, -v15
	;; [unrolled: 2-line block ×3, first 2 shown]
	v_fma_f16 v13, v13, 0xb574, -v21
	v_add_f16_e32 v67, v4, v14
	v_add_f16_e32 v6, v6, v10
	;; [unrolled: 1-line block ×6, first 2 shown]
	v_fmac_f16_e32 v5, 0x370e, v2
	v_fmac_f16_e32 v13, 0x370e, v3
	;; [unrolled: 1-line block ×6, first 2 shown]
	v_add_f16_e32 v20, v13, v14
	v_sub_f16_e32 v2, v10, v11
	v_sub_f16_e32 v21, v4, v7
	v_add_f16_e32 v3, v5, v43
	v_add_f16_e32 v42, v7, v4
	v_sub_f16_e32 v4, v43, v5
	v_sub_f16_e32 v43, v14, v13
	v_add_f16_e32 v5, v11, v10
	v_add_f16_e32 v10, v147, v164
	;; [unrolled: 1-line block ×4, first 2 shown]
	v_sub_f16_e32 v1, v6, v64
	v_sub_f16_e32 v44, v67, v66
	v_add_f16_e32 v6, v64, v6
	v_add_f16_e32 v7, v88, v12
	v_add_f16_e32 v13, v84, v165
	v_sub_f16_e32 v64, v84, v165
	v_sub_f16_e32 v66, v148, v163
	v_add_f16_e32 v67, v151, v87
	v_add_f16_e32 v68, v149, v150
	v_sub_f16_e32 v69, v87, v151
	v_sub_f16_e32 v70, v150, v149
	v_add_f16_e32 v86, v14, v10
	v_sub_f16_e32 v11, v88, v12
	v_sub_f16_e32 v12, v147, v164
	;; [unrolled: 3-line block ×3, first 2 shown]
	v_sub_f16_e32 v89, v7, v67
	v_sub_f16_e32 v10, v10, v68
	;; [unrolled: 1-line block ×4, first 2 shown]
	v_add_f16_e32 v7, v69, v64
	v_add_f16_e32 v93, v70, v66
	;; [unrolled: 1-line block ×4, first 2 shown]
	v_sub_f16_e32 v84, v69, v64
	v_sub_f16_e32 v86, v70, v66
	;; [unrolled: 1-line block ×6, first 2 shown]
	v_add_f16_e32 v11, v7, v11
	v_add_f16_e32 v12, v93, v12
	s_waitcnt lgkmcnt(0)
	v_add_f16_e32 v7, v9, v68
	v_mul_f16_e32 v9, 0x3a52, v89
	v_mul_f16_e32 v10, 0x3a52, v10
	;; [unrolled: 1-line block ×4, first 2 shown]
	v_add_f16_e32 v41, v41, v67
	v_mul_f16_e32 v84, 0xb846, v84
	v_mul_f16_e32 v86, 0xb846, v86
	v_fmamk_f16 v13, v13, 0x2b26, v9
	v_fma_f16 v89, v87, 0x39e0, -v89
	v_fma_f16 v9, v87, 0xb9e0, -v9
	v_mul_f16_e32 v87, 0x3b00, v64
	v_fmamk_f16 v14, v14, 0x2b26, v10
	v_fma_f16 v93, v88, 0x39e0, -v93
	v_fma_f16 v10, v88, 0xb9e0, -v10
	v_mul_f16_e32 v88, 0x3b00, v66
	v_fmac_f16_e32 v90, v139, v94
	v_fmamk_f16 v67, v67, 0xbcab, v41
	v_fmamk_f16 v68, v68, 0xbcab, v7
	v_fma_f16 v94, v64, 0x3b00, -v84
	v_fmamk_f16 v84, v69, 0x3574, v84
	v_fma_f16 v95, v66, 0x3b00, -v86
	;; [unrolled: 2-line block ×3, first 2 shown]
	v_fma_f16 v69, v70, 0xb574, -v88
	v_add_f16_e32 v70, v13, v67
	v_add_f16_e32 v14, v14, v68
	;; [unrolled: 1-line block ×5, first 2 shown]
	v_fmac_f16_e32 v84, 0x370e, v11
	v_fmac_f16_e32 v86, 0x370e, v12
	;; [unrolled: 1-line block ×4, first 2 shown]
	v_add_f16_e32 v93, v10, v68
	v_fmac_f16_e32 v87, 0x370e, v11
	v_fmac_f16_e32 v95, 0x370e, v12
	v_add_f16_e32 v66, v86, v70
	v_sub_f16_e32 v9, v14, v84
	v_add_f16_e32 v67, v69, v89
	v_add_f16_e32 v11, v94, v88
	v_sub_f16_e32 v12, v88, v94
	v_sub_f16_e32 v69, v89, v69
	;; [unrolled: 1-line block ×3, first 2 shown]
	v_add_f16_e32 v14, v84, v14
	v_add_f16_e32 v84, v152, v169
	;; [unrolled: 1-line block ×5, first 2 shown]
	v_sub_f16_e32 v94, v153, v166
	v_add_f16_e32 v96, v156, v157
	v_sub_f16_e32 v98, v157, v156
	v_fmac_f16_e32 v74, v135, v122
	v_fmac_f16_e32 v71, v134, v123
	;; [unrolled: 1-line block ×3, first 2 shown]
	v_sub_f16_e32 v10, v93, v87
	v_sub_f16_e32 v64, v13, v95
	v_add_f16_e32 v68, v95, v13
	v_add_f16_e32 v13, v87, v93
	v_sub_f16_e32 v85, v85, v167
	v_sub_f16_e32 v93, v155, v168
	v_add_f16_e32 v95, v158, v159
	v_sub_f16_e32 v97, v159, v158
	v_add_f16_e32 v122, v88, v84
	v_add_f16_e32 v123, v89, v86
	v_sub_f16_e32 v125, v89, v86
	v_sub_f16_e32 v86, v86, v96
	;; [unrolled: 1-line block ×3, first 2 shown]
	v_add_f16_e32 v127, v98, v94
	v_fmac_f16_e32 v72, v140, v124
	v_fmac_f16_e32 v46, v136, v126
	v_sub_f16_e32 v87, v152, v169
	v_sub_f16_e32 v124, v88, v84
	;; [unrolled: 1-line block ×4, first 2 shown]
	v_add_f16_e32 v126, v97, v93
	v_add_f16_e32 v95, v95, v122
	v_sub_f16_e32 v122, v97, v93
	v_add_f16_e32 v96, v96, v123
	v_sub_f16_e32 v123, v98, v94
	v_sub_f16_e32 v98, v85, v98
	;; [unrolled: 1-line block ×3, first 2 shown]
	v_add_f16_e32 v85, v127, v85
	v_mul_f16_e32 v86, 0x3a52, v86
	v_mul_f16_e32 v127, 0x2b26, v89
	v_sub_f16_e32 v97, v87, v97
	v_sub_f16_e32 v93, v93, v87
	v_add_f16_e32 v87, v126, v87
	v_add_f16_e32 v40, v40, v95
	;; [unrolled: 1-line block ×3, first 2 shown]
	v_mul_f16_e32 v84, 0x3a52, v84
	v_mul_f16_e32 v126, 0x2b26, v88
	;; [unrolled: 1-line block ×4, first 2 shown]
	v_fmamk_f16 v89, v89, 0x2b26, v86
	v_fma_f16 v127, v125, 0x39e0, -v127
	v_fma_f16 v86, v125, 0xb9e0, -v86
	v_mul_f16_e32 v125, 0x3b00, v94
	v_fmac_f16_e32 v45, v142, v128
	v_fmac_f16_e32 v48, v154, v129
	v_fmamk_f16 v88, v88, 0x2b26, v84
	v_fma_f16 v126, v124, 0x39e0, -v126
	v_fma_f16 v84, v124, 0xb9e0, -v84
	v_mul_f16_e32 v124, 0x3b00, v93
	v_fmamk_f16 v95, v95, 0xbcab, v40
	v_fmamk_f16 v96, v96, 0xbcab, v92
	v_fma_f16 v128, v93, 0x3b00, -v122
	v_fmamk_f16 v122, v97, 0x3574, v122
	v_fma_f16 v129, v94, 0x3b00, -v123
	;; [unrolled: 2-line block ×3, first 2 shown]
	v_fma_f16 v97, v97, 0xb574, -v124
	v_add_f16_e32 v124, v88, v95
	v_add_f16_e32 v125, v89, v96
	;; [unrolled: 1-line block ×5, first 2 shown]
	v_fmac_f16_e32 v122, 0x370e, v87
	v_fmac_f16_e32 v123, 0x370e, v85
	;; [unrolled: 1-line block ×5, first 2 shown]
	v_add_f16_e32 v127, v86, v96
	v_fmac_f16_e32 v97, 0x370e, v87
	v_add_f16_e32 v84, v123, v124
	v_sub_f16_e32 v93, v125, v122
	v_add_f16_e32 v86, v98, v126
	v_sub_f16_e32 v85, v88, v129
	v_add_f16_e32 v95, v128, v89
	v_add_f16_e32 v87, v129, v88
	v_sub_f16_e32 v96, v89, v128
	v_sub_f16_e32 v88, v126, v98
	;; [unrolled: 1-line block ×3, first 2 shown]
	v_add_f16_e32 v98, v122, v125
	v_add_f16_e32 v122, v103, v121
	v_add_f16_e32 v123, v100, v120
	v_sub_f16_e32 v103, v103, v121
	v_sub_f16_e32 v100, v100, v120
	v_add_f16_e32 v120, v107, v119
	v_add_f16_e32 v121, v101, v118
	v_sub_f16_e32 v107, v107, v119
	v_sub_f16_e32 v101, v101, v118
	v_add_f16_e32 v118, v110, v117
	v_sub_f16_e32 v110, v117, v110
	v_add_f16_e32 v119, v102, v116
	;; [unrolled: 2-line block ×3, first 2 shown]
	v_add_f16_e32 v117, v121, v123
	v_sub_f16_e32 v124, v120, v122
	v_sub_f16_e32 v122, v122, v118
	;; [unrolled: 1-line block ×3, first 2 shown]
	v_add_f16_e32 v126, v110, v107
	v_sub_f16_e32 v94, v127, v97
	v_add_f16_e32 v97, v97, v127
	v_sub_f16_e32 v125, v121, v123
	v_sub_f16_e32 v123, v123, v119
	;; [unrolled: 1-line block ×3, first 2 shown]
	v_add_f16_e32 v127, v102, v101
	v_add_f16_e32 v116, v118, v116
	v_sub_f16_e32 v118, v110, v107
	v_add_f16_e32 v117, v119, v117
	v_sub_f16_e32 v110, v103, v110
	v_sub_f16_e32 v107, v107, v103
	v_add_f16_e32 v103, v126, v103
	v_mul_f16_e32 v122, 0x3a52, v122
	v_mul_f16_e32 v126, 0x2b26, v120
	v_sub_f16_e32 v119, v102, v101
	v_sub_f16_e32 v102, v100, v102
	;; [unrolled: 1-line block ×3, first 2 shown]
	v_add_f16_e32 v100, v127, v100
	v_add_f16_e32 v37, v37, v116
	;; [unrolled: 1-line block ×3, first 2 shown]
	v_mul_f16_e32 v123, 0x3a52, v123
	v_mul_f16_e32 v127, 0x2b26, v121
	;; [unrolled: 1-line block ×3, first 2 shown]
	v_fmamk_f16 v120, v120, 0x2b26, v122
	v_fma_f16 v126, v124, 0x39e0, -v126
	v_fma_f16 v122, v124, 0xb9e0, -v122
	v_mul_f16_e32 v124, 0x3b00, v107
	v_fmamk_f16 v121, v121, 0x2b26, v123
	v_fma_f16 v127, v125, 0x39e0, -v127
	v_fma_f16 v123, v125, 0xb9e0, -v123
	v_mul_f16_e32 v125, 0x3b00, v101
	v_fmamk_f16 v116, v116, 0xbcab, v37
	v_fmamk_f16 v117, v117, 0xbcab, v99
	v_fma_f16 v107, v107, 0x3b00, -v118
	v_fmamk_f16 v128, v110, 0x3574, v118
	v_fma_f16 v110, v110, 0xb574, -v124
	v_mul_f16_e32 v119, 0xb846, v119
	v_fma_f16 v124, v102, 0xb574, -v125
	v_add_f16_e32 v125, v120, v116
	v_add_f16_e32 v131, v121, v117
	;; [unrolled: 1-line block ×5, first 2 shown]
	v_fmac_f16_e32 v107, 0x370e, v103
	v_fmac_f16_e32 v110, 0x370e, v103
	v_fma_f16 v129, v101, 0x3b00, -v119
	v_fmamk_f16 v130, v102, 0x3574, v119
	v_fmac_f16_e32 v128, 0x370e, v103
	v_add_f16_e32 v102, v107, v120
	v_sub_f16_e32 v101, v122, v110
	v_sub_f16_e32 v103, v120, v107
	v_add_f16_e32 v107, v110, v122
	v_add_f16_e32 v122, v111, v115
	;; [unrolled: 1-line block ×3, first 2 shown]
	v_sub_f16_e32 v111, v111, v115
	v_add_f16_e32 v115, v91, v112
	v_fmac_f16_e32 v130, 0x370e, v100
	v_fmac_f16_e32 v124, 0x370e, v100
	v_sub_f16_e32 v105, v105, v114
	v_add_f16_e32 v114, v108, v113
	v_sub_f16_e32 v108, v108, v113
	v_sub_f16_e32 v91, v91, v112
	v_add_f16_e32 v112, v106, v109
	v_add_f16_e32 v113, v90, v104
	v_sub_f16_e32 v106, v109, v106
	v_add_f16_e32 v109, v115, v123
	v_add_f16_e32 v119, v126, v116
	;; [unrolled: 1-line block ×4, first 2 shown]
	v_sub_f16_e32 v120, v121, v124
	v_sub_f16_e32 v121, v125, v130
	v_sub_f16_e32 v90, v104, v90
	v_add_f16_e32 v104, v114, v122
	v_sub_f16_e32 v124, v114, v122
	v_sub_f16_e32 v125, v115, v123
	;; [unrolled: 1-line block ×5, first 2 shown]
	v_add_f16_e32 v126, v106, v108
	v_add_f16_e32 v109, v113, v109
	v_fmac_f16_e32 v129, 0x370e, v100
	v_sub_f16_e32 v100, v131, v128
	v_add_f16_e32 v110, v128, v131
	v_sub_f16_e32 v114, v112, v114
	v_add_f16_e32 v127, v90, v91
	v_add_f16_e32 v112, v112, v104
	v_sub_f16_e32 v128, v106, v108
	v_sub_f16_e32 v113, v90, v91
	;; [unrolled: 1-line block ×5, first 2 shown]
	v_add_f16_e32 v111, v126, v111
	v_add_f16_e32 v104, v83, v109
	v_mul_f16_e32 v83, 0x3a52, v122
	v_mul_f16_e32 v122, 0x3a52, v123
	;; [unrolled: 1-line block ×3, first 2 shown]
	v_sub_f16_e32 v90, v105, v90
	v_add_f16_e32 v36, v36, v112
	v_mul_f16_e32 v113, 0xb846, v113
	v_fmamk_f16 v115, v115, 0x2b26, v122
	v_fma_f16 v126, v125, 0x39e0, -v126
	v_fma_f16 v122, v125, 0xb9e0, -v122
	v_mul_f16_e32 v125, 0x3b00, v91
	v_add_f16_e32 v105, v127, v105
	v_mul_f16_e32 v123, 0x2b26, v114
	v_fmamk_f16 v114, v114, 0x2b26, v83
	v_fma_f16 v83, v124, 0xb9e0, -v83
	v_fmamk_f16 v112, v112, 0xbcab, v36
	v_fma_f16 v91, v91, 0x3b00, -v113
	;; [unrolled: 2-line block ×3, first 2 shown]
	v_mul_f16_e32 v127, 0xb846, v128
	v_fma_f16 v123, v124, 0x39e0, -v123
	v_mul_f16_e32 v124, 0x3b00, v108
	v_fmamk_f16 v109, v109, 0xbcab, v104
	v_add_f16_e32 v114, v114, v112
	v_add_f16_e32 v83, v83, v112
	v_fmac_f16_e32 v113, 0x370e, v105
	v_fmac_f16_e32 v90, 0x370e, v105
	v_fma_f16 v128, v108, 0x3b00, -v127
	v_fmamk_f16 v127, v106, 0x3574, v127
	v_fma_f16 v124, v106, 0xb574, -v124
	v_add_f16_e32 v123, v123, v112
	v_add_f16_e32 v125, v126, v109
	;; [unrolled: 1-line block ×5, first 2 shown]
	v_sub_f16_e32 v83, v83, v90
	v_sub_f16_e32 v90, v114, v113
	v_add_f16_e32 v113, v78, v82
	v_add_f16_e32 v114, v74, v81
	v_sub_f16_e32 v78, v78, v82
	v_sub_f16_e32 v74, v74, v81
	v_add_f16_e32 v81, v75, v80
	v_add_f16_e32 v82, v71, v79
	;; [unrolled: 1-line block ×3, first 2 shown]
	v_fmac_f16_e32 v127, 0x370e, v111
	v_fmac_f16_e32 v128, 0x370e, v111
	;; [unrolled: 1-line block ×4, first 2 shown]
	v_sub_f16_e32 v75, v75, v80
	v_sub_f16_e32 v71, v71, v79
	v_add_f16_e32 v79, v76, v77
	v_add_f16_e32 v80, v72, v73
	v_sub_f16_e32 v76, v77, v76
	v_sub_f16_e32 v72, v73, v72
	v_add_f16_e32 v73, v81, v113
	v_add_f16_e32 v77, v82, v114
	v_sub_f16_e32 v118, v119, v129
	v_add_f16_e32 v119, v129, v119
	v_sub_f16_e32 v105, v115, v127
	v_sub_f16_e32 v106, v112, v124
	;; [unrolled: 1-line block ×3, first 2 shown]
	v_add_f16_e32 v108, v128, v125
	v_add_f16_e32 v91, v91, v123
	v_sub_f16_e32 v109, v125, v128
	v_add_f16_e32 v111, v124, v112
	v_add_f16_e32 v112, v127, v115
	v_sub_f16_e32 v115, v81, v113
	v_sub_f16_e32 v123, v82, v114
	;; [unrolled: 1-line block ×6, first 2 shown]
	v_add_f16_e32 v124, v76, v75
	v_add_f16_e32 v125, v72, v71
	;; [unrolled: 1-line block ×3, first 2 shown]
	v_sub_f16_e32 v79, v76, v75
	v_add_f16_e32 v77, v80, v77
	v_sub_f16_e32 v80, v72, v71
	v_sub_f16_e32 v71, v71, v74
	;; [unrolled: 1-line block ×5, first 2 shown]
	v_add_f16_e32 v78, v124, v78
	v_mul_f16_e32 v113, 0x3a52, v113
	v_mul_f16_e32 v124, 0x2b26, v81
	v_add_f16_e32 v74, v125, v74
	v_mul_f16_e32 v114, 0x3a52, v114
	v_mul_f16_e32 v125, 0x2b26, v82
	v_add_f16_e32 v27, v27, v73
	v_mul_f16_e32 v79, 0xb846, v79
	v_add_f16_e32 v127, v65, v77
	v_mul_f16_e32 v65, 0xb846, v80
	v_mul_f16_e32 v80, 0x3b00, v71
	v_fmamk_f16 v81, v81, 0x2b26, v113
	v_fma_f16 v124, v115, 0x39e0, -v124
	v_fma_f16 v113, v115, 0xb9e0, -v113
	v_fmamk_f16 v82, v82, 0x2b26, v114
	v_fma_f16 v125, v123, 0x39e0, -v125
	v_fma_f16 v114, v123, 0xb9e0, -v114
	v_mul_f16_e32 v123, 0x3b00, v75
	v_fma_f16 v75, v75, 0x3b00, -v79
	v_fmamk_f16 v73, v73, 0xbcab, v27
	v_fmamk_f16 v77, v77, 0xbcab, v127
	v_fma_f16 v71, v71, 0x3b00, -v65
	v_fmamk_f16 v65, v72, 0x3574, v65
	v_fma_f16 v72, v72, 0xb574, -v80
	;; [unrolled: 2-line block ×3, first 2 shown]
	v_add_f16_e32 v80, v81, v73
	v_add_f16_e32 v81, v82, v77
	;; [unrolled: 1-line block ×5, first 2 shown]
	v_fmac_f16_e32 v75, 0x370e, v78
	v_fmac_f16_e32 v72, 0x370e, v74
	v_add_f16_e32 v77, v114, v77
	v_fmac_f16_e32 v79, 0x370e, v78
	v_fmac_f16_e32 v76, 0x370e, v78
	v_add_f16_e32 v125, v75, v123
	v_add_f16_e32 v78, v72, v73
	v_sub_f16_e32 v123, v123, v75
	v_sub_f16_e32 v72, v73, v72
	v_add_f16_e32 v73, v51, v63
	v_add_f16_e32 v75, v46, v61
	v_sub_f16_e32 v51, v51, v63
	v_sub_f16_e32 v46, v46, v61
	v_add_f16_e32 v61, v59, v62
	v_add_f16_e32 v63, v50, v60
	v_sub_f16_e32 v50, v50, v60
	v_add_f16_e32 v60, v47, v49
	ds_read_u16 v115, v22
	v_fmac_f16_e32 v65, 0x370e, v74
	v_sub_f16_e32 v114, v77, v76
	v_add_f16_e32 v128, v76, v77
	v_sub_f16_e32 v59, v59, v62
	v_add_f16_e32 v62, v45, v48
	v_sub_f16_e32 v47, v49, v47
	v_sub_f16_e32 v45, v48, v45
	v_add_f16_e32 v48, v61, v73
	v_sub_f16_e32 v76, v61, v73
	v_sub_f16_e32 v61, v60, v61
	v_fmac_f16_e32 v71, 0x370e, v74
	v_add_f16_e32 v74, v65, v80
	v_sub_f16_e32 v113, v81, v79
	v_sub_f16_e32 v65, v80, v65
	v_add_f16_e32 v130, v79, v81
	v_add_f16_e32 v49, v63, v75
	v_sub_f16_e32 v77, v63, v75
	v_sub_f16_e32 v73, v73, v60
	;; [unrolled: 1-line block ×4, first 2 shown]
	v_add_f16_e32 v79, v47, v59
	v_add_f16_e32 v48, v60, v48
	;; [unrolled: 1-line block ×3, first 2 shown]
	v_mul_f16_e32 v80, 0x2b26, v61
	v_add_f16_e32 v49, v62, v49
	v_sub_f16_e32 v62, v47, v59
	v_sub_f16_e32 v47, v51, v47
	;; [unrolled: 1-line block ×3, first 2 shown]
	v_add_f16_e32 v51, v79, v51
	v_sub_f16_e32 v79, v45, v50
	v_sub_f16_e32 v45, v46, v45
	v_mul_f16_e32 v73, 0x3a52, v73
	v_sub_f16_e32 v50, v50, v46
	v_add_f16_e32 v46, v60, v46
	v_mul_f16_e32 v60, 0x3a52, v75
	v_fma_f16 v75, v76, 0x39e0, -v80
	v_mul_f16_e32 v80, 0x2b26, v63
	v_fmamk_f16 v61, v61, 0x2b26, v73
	v_fma_f16 v73, v76, 0xb9e0, -v73
	v_mul_f16_e32 v62, 0xb846, v62
	v_fmamk_f16 v63, v63, 0x2b26, v60
	v_fma_f16 v76, v77, 0x39e0, -v80
	v_fma_f16 v60, v77, 0xb9e0, -v60
	v_mul_f16_e32 v77, 0x3b00, v59
	v_add_f16_e32 v25, v25, v48
	s_waitcnt lgkmcnt(0)
	v_add_f16_e32 v115, v115, v49
	v_mul_f16_e32 v79, 0xb846, v79
	v_fma_f16 v59, v59, 0x3b00, -v62
	v_fmamk_f16 v62, v47, 0x3574, v62
	v_fma_f16 v47, v47, 0xb574, -v77
	v_mul_f16_e32 v77, 0x3b00, v50
	v_fmamk_f16 v48, v48, 0xbcab, v25
	v_fmamk_f16 v49, v49, 0xbcab, v115
	v_fma_f16 v50, v50, 0x3b00, -v79
	v_fmamk_f16 v79, v45, 0x3574, v79
	v_fma_f16 v45, v45, 0xb574, -v77
	v_add_f16_e32 v61, v61, v48
	v_add_f16_e32 v63, v63, v49
	;; [unrolled: 1-line block ×6, first 2 shown]
	v_fmac_f16_e32 v79, 0x370e, v46
	v_fmac_f16_e32 v45, 0x370e, v46
	;; [unrolled: 1-line block ×4, first 2 shown]
	v_sub_f16_e32 v124, v82, v71
	v_fmac_f16_e32 v62, 0x370e, v51
	v_fmac_f16_e32 v59, 0x370e, v51
	s_barrier
	buffer_gl0_inv
	ds_write_b16 v30, v8
	ds_write_b16 v30, v15 offset:98
	ds_write_b16 v30, v20 offset:196
	;; [unrolled: 1-line block ×9, first 2 shown]
	v_lshl_add_u32 v8, v24, 1, 0
	v_lshl_add_u32 v15, v23, 1, 0
	;; [unrolled: 1-line block ×4, first 2 shown]
	v_add_f16_e32 v71, v71, v82
	v_add_f16_e32 v46, v79, v61
	;; [unrolled: 1-line block ×3, first 2 shown]
	v_sub_f16_e32 v132, v49, v47
	v_sub_f16_e32 v60, v75, v50
	v_add_f16_e32 v50, v50, v75
	v_sub_f16_e32 v45, v48, v45
	v_add_f16_e32 v135, v47, v49
	v_sub_f16_e32 v47, v61, v79
	v_lshl_add_u32 v23, v39, 1, 0
	v_sub_f16_e32 v131, v63, v62
	v_add_f16_e32 v133, v59, v76
	v_sub_f16_e32 v134, v76, v59
	v_add_f16_e32 v136, v62, v63
	ds_write_b16 v30, v64 offset:980
	ds_write_b16 v30, v68 offset:1078
	;; [unrolled: 1-line block ×39, first 2 shown]
	s_waitcnt lgkmcnt(0)
	s_barrier
	buffer_gl0_inv
	ds_read_u16 v50, v30 offset:3626
	ds_read_u16 v51, v30 offset:4312
	;; [unrolled: 1-line block ×3, first 2 shown]
	ds_read_u16 v64, v32
	ds_read_u16 v71, v33
	;; [unrolled: 1-line block ×3, first 2 shown]
	ds_read_u16 v37, v30 offset:1372
	ds_read_u16 v43, v30 offset:1470
	;; [unrolled: 1-line block ×20, first 2 shown]
	ds_read_u16 v73, v22
	ds_read_u16 v36, v30
	ds_read_u16 v38, v30 offset:686
	ds_read_u16 v46, v30 offset:784
	;; [unrolled: 1-line block ×18, first 2 shown]
	ds_read_u16 v60, v31
	ds_read_u16 v45, v29
	ds_read_u16 v91, v30 offset:4704
	s_waitcnt lgkmcnt(0)
	s_barrier
	buffer_gl0_inv
	ds_write_b16 v30, v0
	ds_write_b16 v30, v1 offset:98
	ds_write_b16 v30, v2 offset:196
	;; [unrolled: 1-line block ×48, first 2 shown]
	s_waitcnt lgkmcnt(0)
	s_barrier
	buffer_gl0_inv
	s_and_saveexec_b32 s4, vcc_lo
	s_cbranch_execz .LBB0_15
; %bb.14:
	v_mul_i32_i24_e32 v12, 6, v57
	v_mov_b32_e32 v13, 0
	v_add_co_u32 v20, s4, s12, v35
	v_add_co_ci_u32_e64 v21, null, s13, 0, s4
	v_lshlrev_b64 v[0:1], 2, v[12:13]
	v_mul_i32_i24_e32 v12, 6, v58
	v_lshlrev_b64 v[16:17], 2, v[16:17]
	v_add_co_u32 v4, vcc_lo, s12, v0
	v_add_co_ci_u32_e32 v5, vcc_lo, s13, v1, vcc_lo
	s_clause 0x1
	global_load_dwordx4 v[0:3], v[4:5], off offset:1344
	global_load_dwordx2 v[22:23], v[4:5], off offset:1360
	v_lshlrev_b64 v[4:5], 2, v[12:13]
	v_mul_i32_i24_e32 v12, 6, v56
	v_mul_i32_i24_e32 v56, -12, v57
	v_add_co_u32 v8, vcc_lo, s12, v4
	v_add_co_ci_u32_e32 v9, vcc_lo, s13, v5, vcc_lo
	s_clause 0x1
	global_load_dwordx4 v[4:7], v[8:9], off offset:1344
	global_load_dwordx2 v[24:25], v[8:9], off offset:1360
	v_lshlrev_b64 v[8:9], 2, v[12:13]
	v_mul_i32_i24_e32 v12, 6, v55
	v_add_co_u32 v14, vcc_lo, s12, v8
	v_add_co_ci_u32_e32 v15, vcc_lo, s13, v9, vcc_lo
	s_clause 0x1
	global_load_dwordx4 v[8:11], v[14:15], off offset:1344
	global_load_dwordx2 v[26:27], v[14:15], off offset:1360
	v_mul_lo_u32 v14, s1, v18
	v_mul_lo_u32 v15, s0, v19
	v_mad_u64_u32 v[18:19], null, s0, v18, 0
	ds_read_u16 v35, v30 offset:1274
	ds_read_u16 v34, v34
	ds_read_u16 v33, v33
	;; [unrolled: 1-line block ×5, first 2 shown]
	ds_read_u16 v57, v30 offset:4704
	ds_read_u16 v58, v30 offset:4606
	;; [unrolled: 1-line block ×16, first 2 shown]
	v_add_nc_u32_e32 v31, v28, v56
	v_lshlrev_b64 v[28:29], 2, v[12:13]
	v_mul_i32_i24_e32 v12, 6, v54
	ds_read_u16 v96, v30 offset:2058
	ds_read_u16 v55, v30 offset:1960
	;; [unrolled: 1-line block ×13, first 2 shown]
	v_add3_u32 v19, v19, v15, v14
	ds_read_u16 v131, v31
	v_lshlrev_b64 v[14:15], 2, v[12:13]
	v_mul_i32_i24_e32 v12, 6, v53
	v_add_co_u32 v28, vcc_lo, s12, v28
	v_add_co_ci_u32_e32 v29, vcc_lo, s13, v29, vcc_lo
	v_lshlrev_b64 v[12:13], 2, v[12:13]
	v_add_co_u32 v14, vcc_lo, s12, v14
	v_add_co_ci_u32_e32 v15, vcc_lo, s13, v15, vcc_lo
	v_lshlrev_b64 v[18:19], 2, v[18:19]
	v_add_co_u32 v31, vcc_lo, s12, v12
	v_add_co_ci_u32_e32 v32, vcc_lo, s13, v13, vcc_lo
	s_clause 0x5
	global_load_dwordx4 v[103:106], v[28:29], off offset:1344
	global_load_dwordx2 v[115:116], v[28:29], off offset:1360
	global_load_dwordx4 v[107:110], v[14:15], off offset:1344
	global_load_dwordx2 v[117:118], v[14:15], off offset:1360
	;; [unrolled: 2-line block ×3, first 2 shown]
	ds_read_u16 v136, v30 offset:1176
	ds_read_u16 v143, v30 offset:1078
	s_waitcnt vmcnt(11)
	v_lshrrev_b32_e32 v31, 16, v0
	v_lshrrev_b32_e32 v32, 16, v1
	;; [unrolled: 1-line block ×4, first 2 shown]
	s_waitcnt vmcnt(10)
	v_lshrrev_b32_e32 v133, 16, v22
	v_lshrrev_b32_e32 v134, 16, v23
	s_waitcnt lgkmcnt(31)
	v_mul_f16_e32 v135, v23, v57
	v_mul_f16_e32 v137, v0, v35
	s_waitcnt lgkmcnt(19)
	v_mul_f16_e32 v138, v2, v119
	v_mul_f16_e32 v139, v3, v112
	s_waitcnt lgkmcnt(6)
	v_mul_f16_e32 v140, v22, v54
	v_mul_f16_e32 v141, v1, v55
	v_mul_f16_e32 v57, v134, v57
	v_fmac_f16_e32 v135, v91, v134
	v_mul_f16_e32 v35, v31, v35
	v_fmac_f16_e32 v137, v87, v31
	v_mul_f16_e32 v31, v132, v112
	v_mul_f16_e32 v112, v53, v119
	;; [unrolled: 1-line block ×4, first 2 shown]
	v_fmac_f16_e32 v138, v88, v53
	v_fmac_f16_e32 v139, v90, v132
	;; [unrolled: 1-line block ×4, first 2 shown]
	s_waitcnt vmcnt(9)
	v_lshrrev_b32_e32 v32, 16, v4
	v_lshrrev_b32_e32 v53, 16, v5
	;; [unrolled: 1-line block ×4, first 2 shown]
	s_waitcnt vmcnt(8)
	v_lshrrev_b32_e32 v133, 16, v24
	v_lshrrev_b32_e32 v134, 16, v25
	v_mul_f16_e32 v142, v25, v58
	s_waitcnt lgkmcnt(1)
	v_mul_f16_e32 v144, v4, v136
	v_mul_f16_e32 v145, v6, v120
	;; [unrolled: 1-line block ×5, first 2 shown]
	v_fma_f16 v0, v87, v0, -v35
	v_fma_f16 v3, v90, v3, -v31
	;; [unrolled: 1-line block ×6, first 2 shown]
	v_add_f16_e32 v31, v137, v135
	v_add_f16_e32 v35, v139, v138
	;; [unrolled: 1-line block ×3, first 2 shown]
	v_sub_f16_e32 v55, v137, v135
	v_sub_f16_e32 v57, v139, v138
	;; [unrolled: 1-line block ×3, first 2 shown]
	v_mul_f16_e32 v87, v32, v136
	v_mul_f16_e32 v58, v134, v58
	v_mul_f16_e32 v88, v132, v113
	v_mul_f16_e32 v89, v119, v120
	v_mul_f16_e32 v90, v53, v124
	ds_read_u16 v124, v30 offset:980
	v_mul_f16_e32 v56, v133, v56
	v_fmac_f16_e32 v142, v81, v134
	v_fmac_f16_e32 v144, v85, v32
	;; [unrolled: 1-line block ×6, first 2 shown]
	s_waitcnt vmcnt(7)
	v_lshrrev_b32_e32 v32, 16, v8
	v_lshrrev_b32_e32 v53, 16, v9
	;; [unrolled: 1-line block ×4, first 2 shown]
	s_waitcnt vmcnt(6)
	v_lshrrev_b32_e32 v113, 16, v26
	v_lshrrev_b32_e32 v119, 16, v27
	v_mul_f16_e32 v120, v27, v111
	s_waitcnt lgkmcnt(1)
	v_mul_f16_e32 v132, v8, v143
	v_mul_f16_e32 v133, v10, v122
	;; [unrolled: 1-line block ×5, first 2 shown]
	v_fma_f16 v4, v85, v4, -v87
	v_fma_f16 v7, v84, v7, -v88
	;; [unrolled: 1-line block ×4, first 2 shown]
	v_sub_f16_e32 v82, v0, v23
	v_sub_f16_e32 v83, v3, v2
	;; [unrolled: 1-line block ×4, first 2 shown]
	v_add_f16_e32 v0, v0, v23
	v_sub_f16_e32 v23, v35, v54
	v_add_f16_e32 v2, v3, v2
	v_add_f16_e32 v3, v31, v54
	;; [unrolled: 1-line block ×3, first 2 shown]
	v_sub_f16_e32 v22, v55, v57
	v_sub_f16_e32 v31, v54, v31
	;; [unrolled: 1-line block ×3, first 2 shown]
	v_add_f16_e32 v57, v57, v86
	v_sub_f16_e32 v86, v86, v55
	v_fma_f16 v25, v81, v25, -v58
	v_fma_f16 v24, v80, v24, -v56
	v_add_f16_e32 v56, v144, v142
	v_add_f16_e32 v80, v148, v147
	v_sub_f16_e32 v87, v146, v145
	v_sub_f16_e32 v88, v148, v147
	v_add_f16_e32 v58, v146, v145
	v_sub_f16_e32 v81, v144, v142
	v_mul_f16_e32 v89, v32, v143
	v_mul_f16_e32 v90, v119, v111
	;; [unrolled: 1-line block ×6, first 2 shown]
	v_fmac_f16_e32 v120, v78, v119
	v_fmac_f16_e32 v132, v79, v32
	;; [unrolled: 1-line block ×6, first 2 shown]
	v_sub_f16_e32 v32, v82, v83
	v_sub_f16_e32 v53, v83, v84
	v_add_f16_e32 v83, v83, v84
	v_mul_f16_e32 v91, 0x3a52, v85
	v_mul_f16_e32 v23, 0x2b26, v23
	v_add_f16_e32 v35, v35, v3
	v_sub_f16_e32 v112, v0, v2
	v_sub_f16_e32 v113, v2, v1
	v_add_f16_e32 v119, v0, v1
	v_add_f16_e32 v55, v55, v57
	v_sub_f16_e32 v57, v84, v82
	v_sub_f16_e32 v0, v1, v0
	v_mul_f16_e32 v1, 0x3b00, v86
	v_sub_f16_e32 v84, v4, v25
	v_sub_f16_e32 v129, v7, v6
	;; [unrolled: 1-line block ×3, first 2 shown]
	v_add_f16_e32 v140, v56, v80
	v_add_f16_e32 v4, v4, v25
	;; [unrolled: 1-line block ×4, first 2 shown]
	v_mul_f16_e32 v54, 0xb846, v54
	v_sub_f16_e32 v138, v56, v58
	v_sub_f16_e32 v139, v58, v80
	v_add_f16_e32 v6, v7, v6
	v_sub_f16_e32 v7, v81, v87
	v_sub_f16_e32 v24, v87, v88
	;; [unrolled: 1-line block ×4, first 2 shown]
	v_fma_f16 v8, v79, v8, -v89
	v_fma_f16 v27, v78, v27, -v90
	;; [unrolled: 1-line block ×6, first 2 shown]
	v_add_f16_e32 v76, v132, v120
	v_add_f16_e32 v77, v136, v135
	v_sub_f16_e32 v79, v134, v133
	v_sub_f16_e32 v87, v136, v135
	v_mul_f16_e32 v53, 0xb846, v53
	v_add_f16_e32 v75, v82, v83
	v_fmamk_f16 v82, v85, 0x3a52, v23
	v_add_f16_e32 v3, v131, v35
	v_mul_f16_e32 v83, 0x3a52, v112
	v_mul_f16_e32 v85, 0x2b26, v113
	v_add_f16_e32 v2, v2, v119
	v_mul_f16_e32 v89, 0x3b00, v57
	v_fma_f16 v90, v31, 0xb9e0, -v91
	v_fma_f16 v91, v22, 0xb574, -v1
	v_fma_f16 v1, v31, 0x39e0, -v23
	v_sub_f16_e32 v31, v129, v137
	v_add_f16_e32 v58, v58, v140
	v_add_f16_e32 v119, v4, v5
	;; [unrolled: 1-line block ×3, first 2 shown]
	v_sub_f16_e32 v81, v137, v84
	v_add_f16_e32 v74, v134, v133
	v_sub_f16_e32 v78, v132, v120
	v_fmamk_f16 v88, v22, 0x3574, v54
	v_fma_f16 v23, v86, 0x3b00, -v54
	v_sub_f16_e32 v22, v84, v129
	v_add_f16_e32 v54, v129, v137
	v_mul_f16_e32 v86, 0x3a52, v138
	v_mul_f16_e32 v111, 0x2b26, v139
	v_sub_f16_e32 v113, v4, v6
	v_sub_f16_e32 v114, v6, v5
	v_mul_f16_e32 v24, 0xb846, v24
	v_sub_f16_e32 v4, v5, v4
	v_mul_f16_e32 v5, 0x3b00, v80
	v_sub_f16_e32 v120, v8, v27
	v_sub_f16_e32 v122, v11, v10
	v_sub_f16_e32 v125, v9, v26
	v_add_f16_e32 v132, v76, v77
	v_add_f16_e32 v133, v8, v27
	;; [unrolled: 1-line block ×4, first 2 shown]
	v_sub_f16_e32 v9, v79, v87
	v_fmamk_f16 v10, v32, 0x3574, v53
	v_fmamk_f16 v26, v35, 0xbcab, v3
	;; [unrolled: 1-line block ×3, first 2 shown]
	v_add_f16_e32 v11, v73, v2
	v_fma_f16 v32, v32, 0xb574, -v89
	v_fma_f16 v35, v0, 0xb9e0, -v83
	v_fma_f16 v53, v57, 0x3b00, -v53
	v_fma_f16 v57, v0, 0x39e0, -v85
	v_mul_f16_e32 v0, 0xb846, v31
	v_add_f16_e32 v34, v34, v58
	v_add_f16_e32 v6, v6, v119
	v_mul_f16_e32 v85, 0x3b00, v81
	v_sub_f16_e32 v131, v74, v77
	v_fmac_f16_e32 v88, 0x370e, v55
	v_fmac_f16_e32 v91, 0x370e, v55
	;; [unrolled: 1-line block ×3, first 2 shown]
	v_add_f16_e32 v31, v84, v54
	v_mul_f16_e32 v83, 0x2b26, v114
	v_fmamk_f16 v84, v7, 0x3574, v24
	v_fma_f16 v86, v56, 0xb9e0, -v86
	v_fma_f16 v89, v7, 0xb574, -v5
	;; [unrolled: 1-line block ×4, first 2 shown]
	v_sub_f16_e32 v5, v122, v125
	v_add_f16_e32 v7, v122, v125
	v_add_f16_e32 v24, v74, v132
	v_mul_f16_e32 v132, 0xb846, v9
	v_add_f16_e32 v9, v82, v26
	v_fmamk_f16 v82, v2, 0xbcab, v11
	v_fmac_f16_e32 v32, 0x370e, v75
	v_add_f16_e32 v90, v90, v26
	v_add_f16_e32 v26, v1, v26
	v_fmac_f16_e32 v53, 0x370e, v75
	v_fmamk_f16 v58, v58, 0xbcab, v34
	v_add_f16_e32 v55, v72, v6
	v_fma_f16 v72, v22, 0xb574, -v85
	v_fma_f16 v81, v81, 0x3b00, -v0
	v_sub_f16_e32 v129, v76, v74
	v_fmamk_f16 v54, v138, 0x3a52, v111
	v_mul_f16_e32 v73, 0x3a52, v113
	v_mul_f16_e32 v114, 0x2b26, v131
	v_add_f16_e32 v131, v133, v134
	v_fmac_f16_e32 v10, 0x370e, v75
	v_fmamk_f16 v136, v22, 0x3574, v0
	v_fmamk_f16 v113, v113, 0x3a52, v83
	v_fmac_f16_e32 v84, 0x370e, v25
	v_fmac_f16_e32 v89, 0x370e, v25
	v_fmac_f16_e32 v80, 0x370e, v25
	v_fma_f16 v83, v4, 0x39e0, -v83
	v_mul_f16_e32 v85, 0xb846, v5
	v_add_f16_e32 v137, v120, v7
	v_add_f16_e32 v74, v33, v24
	;; [unrolled: 1-line block ×5, first 2 shown]
	v_sub_f16_e32 v2, v26, v53
	v_add_f16_e32 v33, v57, v82
	v_add_f16_e32 v5, v53, v26
	v_sub_f16_e32 v7, v90, v32
	v_fmamk_f16 v32, v6, 0xbcab, v55
	v_fmac_f16_e32 v72, 0x370e, v31
	v_add_f16_e32 v35, v86, v58
	v_add_f16_e32 v53, v56, v58
	v_fmac_f16_e32 v81, 0x370e, v31
	v_sub_f16_e32 v111, v120, v122
	v_sub_f16_e32 v119, v133, v8
	;; [unrolled: 1-line block ×3, first 2 shown]
	v_fma_f16 v73, v4, 0xb9e0, -v73
	v_add_f16_e32 v131, v8, v131
	v_add_f16_e32 v0, v10, v9
	v_sub_f16_e32 v22, v9, v10
	v_fmac_f16_e32 v136, 0x370e, v31
	v_add_f16_e32 v26, v54, v58
	v_sub_f16_e32 v4, v25, v88
	v_add_f16_e32 v8, v23, v33
	v_sub_f16_e32 v9, v33, v23
	v_add_f16_e32 v23, v88, v25
	v_add_f16_e32 v25, v72, v35
	v_sub_f16_e32 v31, v53, v81
	v_add_f16_e32 v58, v83, v32
	v_add_f16_e32 v33, v81, v53
	v_sub_f16_e32 v53, v35, v72
	v_sub_f16_e32 v72, v125, v120
	v_mul_f16_e32 v112, 0x3a52, v129
	v_add_f16_e32 v57, v113, v32
	v_add_f16_e32 v54, v73, v32
	;; [unrolled: 1-line block ×3, first 2 shown]
	v_sub_f16_e32 v35, v58, v80
	v_add_f16_e32 v58, v79, v87
	v_mul_f16_e32 v73, 0x3b00, v72
	v_sub_f16_e32 v76, v77, v76
	v_sub_f16_e32 v135, v78, v79
	v_fmamk_f16 v86, v24, 0xbcab, v74
	v_add_f16_e32 v83, v78, v58
	v_fma_f16 v88, v111, 0xb574, -v73
	v_fma_f16 v73, v76, 0xb9e0, -v112
	v_sub_f16_e32 v78, v87, v78
	v_fmamk_f16 v129, v129, 0x3a52, v114
	v_mul_f16_e32 v122, 0x2b26, v122
	v_add_f16_e32 v75, v71, v131
	v_sub_f16_e32 v6, v27, v91
	v_add_f16_e32 v10, v91, v27
	v_sub_f16_e32 v27, v54, v89
	v_add_f16_e32 v54, v89, v54
	v_mul_f16_e32 v77, 0x3a52, v119
	v_add_f16_e32 v87, v73, v86
	v_sub_f16_e32 v73, v134, v133
	v_mul_f16_e32 v89, 0x3b00, v78
	v_fma_f16 v76, v76, 0x39e0, -v114
	v_add_f16_e32 v81, v129, v86
	v_fmamk_f16 v71, v119, 0x3a52, v122
	v_fmamk_f16 v79, v131, 0xbcab, v75
	;; [unrolled: 1-line block ×3, first 2 shown]
	v_fma_f16 v77, v73, 0xb9e0, -v77
	v_fma_f16 v89, v135, 0xb574, -v89
	v_add_f16_e32 v76, v76, v86
	v_fma_f16 v78, v78, 0x3b00, -v132
	v_fma_f16 v86, v73, 0x39e0, -v122
	ds_read_u16 v122, v30 offset:882
	v_fmamk_f16 v82, v111, 0x3574, v85
	v_add_f16_e32 v24, v136, v26
	v_sub_f16_e32 v56, v26, v136
	v_sub_f16_e32 v26, v57, v84
	v_add_f16_e32 v57, v84, v57
	v_add_f16_e32 v84, v71, v79
	v_fmac_f16_e32 v80, 0x370e, v83
	v_fma_f16 v85, v72, 0x3b00, -v85
	v_add_f16_e32 v90, v77, v79
	v_fmac_f16_e32 v89, 0x370e, v83
	v_fmac_f16_e32 v78, 0x370e, v83
	v_add_f16_e32 v77, v86, v79
	s_waitcnt vmcnt(5)
	v_lshrrev_b32_e32 v79, 16, v103
	v_lshrrev_b32_e32 v83, 16, v104
	;; [unrolled: 1-line block ×4, first 2 shown]
	s_waitcnt vmcnt(4)
	v_lshrrev_b32_e32 v125, 16, v115
	v_lshrrev_b32_e32 v129, 16, v116
	v_fmac_f16_e32 v85, 0x370e, v137
	s_waitcnt lgkmcnt(1)
	v_mul_f16_e32 v111, v79, v124
	v_mul_f16_e32 v112, v91, v121
	v_mul_f16_e32 v113, v86, v123
	v_mul_f16_e32 v114, v83, v126
	v_mul_f16_e32 v119, v125, v130
	v_mul_f16_e32 v120, v129, v127
	v_fmac_f16_e32 v82, 0x370e, v137
	v_fmac_f16_e32 v88, 0x370e, v137
	v_sub_f16_e32 v73, v76, v85
	ds_read_u16 v131, v30 offset:2940
	ds_read_u16 v132, v30 offset:2254
	;; [unrolled: 1-line block ×3, first 2 shown]
	v_fma_f16 v134, v68, v106, -v112
	v_fma_f16 v135, v67, v105, -v113
	;; [unrolled: 1-line block ×4, first 2 shown]
	v_add_f16_e32 v76, v85, v76
	v_fma_f16 v85, v70, v103, -v111
	v_fma_f16 v138, v65, v116, -v120
	s_clause 0x1
	global_load_dwordx4 v[111:114], v[20:21], off offset:1344
	global_load_dwordx2 v[119:120], v[20:21], off offset:1360
	v_mul_f16_e32 v116, v116, v127
	v_add_f16_e32 v72, v88, v87
	v_mul_f16_e32 v115, v115, v130
	v_mul_f16_e32 v104, v104, v126
	v_sub_f16_e32 v20, v90, v89
	v_fmac_f16_e32 v116, v65, v129
	v_sub_f16_e32 v65, v87, v88
	v_mul_f16_e32 v87, v103, v124
	v_fmac_f16_e32 v115, v69, v125
	v_fmac_f16_e32 v104, v66, v83
	v_add_f16_e32 v66, v89, v90
	v_add_f16_e32 v58, v82, v81
	v_fmac_f16_e32 v87, v70, v79
	v_mul_f16_e32 v70, v105, v123
	v_mul_f16_e32 v79, v106, v121
	v_sub_f16_e32 v71, v84, v80
	v_add_f16_e32 v21, v78, v77
	v_add_f16_e32 v83, v87, v116
	v_fmac_f16_e32 v70, v67, v86
	v_fmac_f16_e32 v79, v68, v91
	v_add_f16_e32 v86, v104, v115
	v_sub_f16_e32 v67, v81, v82
	v_add_f16_e32 v68, v80, v84
	v_add_f16_e32 v82, v85, v138
	;; [unrolled: 1-line block ×4, first 2 shown]
	v_sub_f16_e32 v77, v77, v78
	v_sub_f16_e32 v78, v85, v138
	v_sub_f16_e32 v139, v134, v135
	v_sub_f16_e32 v80, v90, v86
	v_add_f16_e32 v81, v90, v91
	v_add_f16_e32 v91, v136, v137
	v_sub_f16_e32 v85, v83, v90
	v_add_f16_e32 v90, v134, v135
	v_mul_f16_e32 v80, 0x2b26, v80
	v_add_f16_e32 v84, v92, v81
	v_add_f16_e32 v92, v82, v91
	v_sub_f16_e32 v140, v136, v137
	v_mul_f16_e32 v105, 0x3a52, v85
	v_fmamk_f16 v106, v85, 0x3a52, v80
	v_sub_f16_e32 v85, v90, v91
	v_add_f16_e32 v92, v90, v92
	v_sub_f16_e32 v70, v79, v70
	v_sub_f16_e32 v79, v104, v115
	;; [unrolled: 1-line block ×3, first 2 shown]
	v_add_f16_e32 v69, v139, v140
	v_mul_f16_e32 v104, 0x2b26, v85
	v_add_f16_e32 v85, v64, v92
	v_sub_f16_e32 v87, v87, v116
	v_sub_f16_e32 v64, v70, v79
	;; [unrolled: 1-line block ×3, first 2 shown]
	v_mul_f16_e32 v103, 0xb846, v127
	v_add_f16_e32 v69, v78, v69
	v_sub_f16_e32 v90, v82, v90
	v_sub_f16_e32 v116, v87, v70
	v_mul_f16_e32 v121, 0xb846, v64
	v_sub_f16_e32 v78, v140, v78
	v_add_f16_e32 v70, v70, v79
	v_sub_f16_e32 v83, v86, v83
	v_sub_f16_e32 v82, v91, v82
	;; [unrolled: 1-line block ×3, first 2 shown]
	v_fmamk_f16 v115, v90, 0x3a52, v104
	v_fmamk_f16 v92, v92, 0xbcab, v85
	v_mul_f16_e32 v90, 0x3a52, v90
	v_mul_f16_e32 v124, 0x3b00, v78
	v_add_f16_e32 v70, v87, v70
	v_fma_f16 v87, v83, 0xb9e0, -v105
	v_fma_f16 v80, v83, 0x39e0, -v80
	;; [unrolled: 1-line block ×5, first 2 shown]
	v_fmamk_f16 v89, v88, 0x3574, v103
	v_fmamk_f16 v81, v81, 0xbcab, v84
	v_fma_f16 v86, v88, 0xb574, -v124
	v_fma_f16 v88, v82, 0xb9e0, -v90
	v_mul_f16_e32 v90, 0x3b00, v79
	v_fmac_f16_e32 v91, 0x370e, v70
	v_add_f16_e32 v82, v78, v92
	v_add_f16_e32 v106, v106, v81
	v_fmamk_f16 v123, v116, 0x3574, v121
	v_fmac_f16_e32 v86, 0x370e, v69
	v_add_f16_e32 v87, v87, v81
	v_fma_f16 v90, v116, 0xb574, -v90
	v_add_f16_e32 v81, v80, v81
	v_fmac_f16_e32 v83, 0x370e, v69
	v_add_f16_e32 v80, v91, v82
	v_sub_f16_e32 v82, v82, v91
	s_waitcnt vmcnt(4)
	v_lshrrev_b32_e32 v91, 16, v118
	v_fmac_f16_e32 v123, 0x370e, v70
	v_fmac_f16_e32 v90, 0x370e, v70
	v_add_f16_e32 v70, v86, v87
	v_sub_f16_e32 v79, v81, v83
	v_add_f16_e32 v81, v83, v81
	v_sub_f16_e32 v83, v87, v86
	v_lshrrev_b32_e32 v86, 16, v107
	v_mul_f16_e32 v116, v91, v128
	v_lshrrev_b32_e32 v126, 16, v117
	v_add_f16_e32 v115, v115, v92
	v_add_f16_e32 v88, v88, v92
	s_waitcnt lgkmcnt(3)
	v_mul_f16_e32 v105, v86, v122
	v_fma_f16 v116, v51, v118, -v116
	v_mul_f16_e32 v118, v118, v128
	v_lshrrev_b32_e32 v87, 16, v108
	v_lshrrev_b32_e32 v92, 16, v110
	v_lshrrev_b32_e32 v103, 16, v109
	v_fma_f16 v105, v63, v107, -v105
	v_mul_f16_e32 v134, v126, v101
	v_mul_f16_e32 v107, v107, v122
	v_fmac_f16_e32 v118, v51, v91
	v_mul_f16_e32 v91, v117, v101
	s_waitcnt lgkmcnt(0)
	v_mul_f16_e32 v101, v108, v133
	v_mul_f16_e32 v121, v92, v131
	;; [unrolled: 1-line block ×4, first 2 shown]
	v_fmac_f16_e32 v107, v63, v86
	v_mul_f16_e32 v63, v109, v132
	v_mul_f16_e32 v86, v110, v131
	v_fmac_f16_e32 v91, v50, v126
	v_fmac_f16_e32 v101, v59, v87
	v_fma_f16 v121, v62, v110, -v121
	v_fma_f16 v125, v61, v109, -v125
	;; [unrolled: 1-line block ×4, first 2 shown]
	v_add_f16_e32 v108, v107, v118
	v_fmac_f16_e32 v63, v61, v103
	v_fmac_f16_e32 v86, v62, v92
	v_add_f16_e32 v61, v101, v91
	v_sub_f16_e32 v78, v88, v90
	v_sub_f16_e32 v128, v121, v125
	;; [unrolled: 1-line block ×3, first 2 shown]
	v_add_f16_e32 v50, v90, v88
	v_add_f16_e32 v88, v86, v63
	;; [unrolled: 1-line block ×3, first 2 shown]
	v_fmac_f16_e32 v89, 0x370e, v69
	v_sub_f16_e32 v51, v128, v87
	v_sub_f16_e32 v69, v115, v123
	;; [unrolled: 1-line block ×3, first 2 shown]
	v_add_f16_e32 v90, v88, v90
	v_add_f16_e32 v64, v89, v106
	v_mul_f16_e32 v92, 0xb846, v51
	v_sub_f16_e32 v51, v106, v89
	v_add_f16_e32 v59, v123, v115
	v_sub_f16_e32 v89, v88, v61
	v_sub_f16_e32 v109, v108, v88
	v_add_f16_e32 v88, v93, v90
	v_add_f16_e32 v93, v105, v116
	;; [unrolled: 1-line block ×5, first 2 shown]
	v_mul_f16_e32 v89, 0x2b26, v89
	v_sub_f16_e32 v63, v86, v63
	v_sub_f16_e32 v86, v101, v91
	;; [unrolled: 1-line block ×5, first 2 shown]
	ds_read_u16 v124, v30 offset:2156
	ds_read_u16 v127, v30 offset:1470
	;; [unrolled: 1-line block ×3, first 2 shown]
	v_sub_f16_e32 v62, v130, v128
	v_fmamk_f16 v110, v109, 0x3a52, v89
	v_mul_f16_e32 v109, 0x3a52, v109
	v_mul_f16_e32 v101, 0x2b26, v117
	v_sub_f16_e32 v117, v63, v86
	v_sub_f16_e32 v121, v107, v63
	v_add_f16_e32 v63, v63, v86
	v_mul_f16_e32 v122, 0x3b00, v87
	v_sub_f16_e32 v86, v86, v107
	v_sub_f16_e32 v61, v61, v108
	ds_read_u16 v104, v30 offset:784
	v_fmamk_f16 v103, v62, 0x3574, v92
	v_add_f16_e32 v106, v130, v106
	v_add_f16_e32 v116, v93, v105
	v_mul_f16_e32 v117, 0xb846, v117
	v_add_f16_e32 v107, v107, v63
	v_fma_f16 v122, v62, 0xb574, -v122
	v_mul_f16_e32 v62, 0x3b00, v86
	v_fma_f16 v63, v61, 0xb9e0, -v109
	v_fma_f16 v61, v61, 0x39e0, -v89
	;; [unrolled: 1-line block ×3, first 2 shown]
	v_fmac_f16_e32 v103, 0x370e, v106
	v_add_f16_e32 v116, v115, v116
	v_sub_f16_e32 v115, v93, v115
	v_fmamk_f16 v123, v121, 0x3574, v117
	v_sub_f16_e32 v93, v105, v93
	v_fmac_f16_e32 v122, 0x370e, v106
	v_fma_f16 v108, v121, 0xb574, -v62
	v_fmac_f16_e32 v89, 0x370e, v106
	v_fma_f16 v106, v86, 0x3b00, -v117
	v_fmamk_f16 v118, v115, 0x3a52, v101
	v_mul_f16_e32 v115, 0x3a52, v115
	v_fmac_f16_e32 v123, 0x370e, v107
	v_fmac_f16_e32 v108, 0x370e, v107
	;; [unrolled: 1-line block ×3, first 2 shown]
	v_fma_f16 v87, v93, 0x39e0, -v101
	s_waitcnt vmcnt(3)
	v_lshrrev_b32_e32 v101, 16, v13
	v_lshrrev_b32_e32 v107, 16, v14
	;; [unrolled: 1-line block ×3, first 2 shown]
	s_waitcnt vmcnt(2)
	v_lshrrev_b32_e32 v121, 16, v28
	v_fma_f16 v105, v93, 0xb9e0, -v115
	v_lshrrev_b32_e32 v93, 16, v12
	v_lshrrev_b32_e32 v125, 16, v29
	v_mul_f16_e32 v126, v109, v100
	s_waitcnt lgkmcnt(3)
	v_mul_f16_e32 v128, v107, v124
	s_waitcnt lgkmcnt(2)
	v_mul_f16_e32 v130, v101, v127
	v_mul_f16_e32 v131, v121, v99
	v_add_f16_e32 v91, v60, v116
	ds_read_u16 v115, v30 offset:686
	s_waitcnt lgkmcnt(1)
	v_mul_f16_e32 v117, v93, v104
	v_mul_f16_e32 v132, v125, v102
	v_fma_f16 v126, v47, v15, -v126
	v_fma_f16 v128, v44, v14, -v128
	;; [unrolled: 1-line block ×4, first 2 shown]
	v_fmamk_f16 v90, v90, 0xbcab, v88
	v_fmamk_f16 v116, v116, 0xbcab, v91
	v_fma_f16 v117, v46, v12, -v117
	v_fma_f16 v132, v49, v29, -v132
	v_sub_f16_e32 v133, v126, v128
	v_sub_f16_e32 v134, v130, v131
	v_mul_f16_e32 v102, v29, v102
	v_mul_f16_e32 v12, v12, v104
	v_add_f16_e32 v110, v110, v90
	v_add_f16_e32 v118, v118, v116
	;; [unrolled: 1-line block ×6, first 2 shown]
	v_sub_f16_e32 v135, v117, v132
	v_fmac_f16_e32 v102, v49, v125
	v_mul_f16_e32 v49, v28, v99
	v_mul_f16_e32 v13, v13, v127
	v_fmac_f16_e32 v12, v46, v93
	v_mul_f16_e32 v93, v15, v100
	v_add_f16_e32 v15, v133, v134
	v_add_f16_e32 v60, v103, v110
	v_sub_f16_e32 v63, v105, v108
	v_sub_f16_e32 v86, v90, v89
	v_add_f16_e32 v87, v106, v116
	v_add_f16_e32 v89, v89, v90
	v_sub_f16_e32 v90, v116, v106
	v_sub_f16_e32 v106, v133, v134
	v_mul_f16_e32 v46, v14, v124
	v_fmac_f16_e32 v49, v48, v121
	v_fmac_f16_e32 v13, v43, v101
	;; [unrolled: 1-line block ×3, first 2 shown]
	v_add_f16_e32 v14, v108, v105
	v_add_f16_e32 v47, v135, v15
	v_sub_f16_e32 v15, v110, v103
	v_add_f16_e32 v103, v117, v132
	v_add_f16_e32 v105, v130, v131
	v_mul_f16_e32 v104, 0xb846, v106
	v_add_f16_e32 v48, v12, v102
	v_fmac_f16_e32 v46, v44, v107
	v_add_f16_e32 v44, v13, v49
	v_add_f16_e32 v106, v126, v128
	v_add_f16_e32 v107, v103, v105
	v_sub_f16_e32 v13, v13, v49
	v_add_f16_e32 v43, v93, v46
	v_add_f16_e32 v100, v48, v44
	v_sub_f16_e32 v46, v93, v46
	v_add_f16_e32 v107, v106, v107
	v_sub_f16_e32 v12, v12, v102
	v_sub_f16_e32 v101, v43, v44
	v_add_f16_e32 v100, v43, v100
	v_sub_f16_e32 v43, v48, v43
	v_sub_f16_e32 v109, v106, v105
	;; [unrolled: 1-line block ×3, first 2 shown]
	v_add_f16_e32 v106, v45, v107
	v_sub_f16_e32 v45, v46, v13
	v_sub_f16_e32 v110, v12, v46
	v_add_f16_e32 v46, v46, v13
	v_sub_f16_e32 v13, v13, v12
	v_mul_f16_e32 v101, 0x2b26, v101
	v_add_f16_e32 v97, v97, v100
	v_mul_f16_e32 v108, 0x3a52, v43
	v_mul_f16_e32 v93, 0x2b26, v109
	v_mul_f16_e32 v45, 0xb846, v45
	v_sub_f16_e32 v116, v134, v135
	v_sub_f16_e32 v44, v44, v48
	;; [unrolled: 1-line block ×3, first 2 shown]
	v_mul_f16_e32 v103, 0x3b00, v13
	v_sub_f16_e32 v61, v118, v123
	v_add_f16_e32 v62, v122, v92
	v_sub_f16_e32 v29, v92, v122
	v_sub_f16_e32 v92, v135, v133
	v_add_f16_e32 v28, v123, v118
	v_fmamk_f16 v43, v43, 0x3a52, v101
	v_fmamk_f16 v100, v100, 0xbcab, v97
	;; [unrolled: 1-line block ×4, first 2 shown]
	v_mul_f16_e32 v118, 0x3b00, v116
	v_add_f16_e32 v12, v12, v46
	v_fma_f16 v46, v44, 0xb9e0, -v108
	v_fma_f16 v103, v110, 0xb574, -v103
	;; [unrolled: 1-line block ×6, first 2 shown]
	v_fmamk_f16 v99, v92, 0x3574, v104
	v_fmamk_f16 v109, v49, 0x3a52, v93
	v_mul_f16_e32 v49, 0x3a52, v49
	v_fma_f16 v92, v92, 0xb574, -v118
	v_fmac_f16_e32 v117, 0x370e, v12
	v_fmac_f16_e32 v103, 0x370e, v12
	v_add_f16_e32 v93, v44, v100
	v_fmac_f16_e32 v101, 0x370e, v47
	v_fmac_f16_e32 v13, 0x370e, v12
	v_add_f16_e32 v12, v45, v107
	v_fmac_f16_e32 v99, 0x370e, v47
	v_add_f16_e32 v102, v43, v100
	v_fma_f16 v49, v48, 0xb9e0, -v49
	v_fmac_f16_e32 v92, 0x370e, v47
	v_add_f16_e32 v105, v46, v100
	v_sub_f16_e32 v47, v93, v101
	v_add_f16_e32 v48, v13, v12
	v_add_f16_e32 v100, v101, v93
	v_sub_f16_e32 v101, v12, v13
	v_add_f16_e32 v109, v109, v107
	s_waitcnt vmcnt(1)
	v_lshrrev_b32_e32 v12, 16, v111
	s_waitcnt vmcnt(0)
	v_lshrrev_b32_e32 v13, 16, v120
	v_add_f16_e32 v49, v49, v107
	v_add_f16_e32 v45, v92, v105
	v_sub_f16_e32 v104, v105, v92
	s_waitcnt lgkmcnt(0)
	v_mul_f16_e32 v105, v12, v115
	v_mul_f16_e32 v107, v13, v98
	;; [unrolled: 1-line block ×3, first 2 shown]
	v_lshrrev_b32_e32 v92, 16, v113
	v_lshrrev_b32_e32 v108, 16, v112
	v_fma_f16 v105, v38, v111, -v105
	v_fma_f16 v107, v42, v120, -v107
	v_lshrrev_b32_e32 v118, 16, v119
	v_mul_f16_e32 v111, v111, v115
	v_fmac_f16_e32 v98, v42, v13
	v_mul_f16_e32 v13, v119, v94
	v_mul_f16_e32 v42, v112, v129
	v_lshrrev_b32_e32 v93, 16, v114
	ds_read_u16 v30, v30
	v_mul_f16_e32 v116, v92, v96
	v_mul_f16_e32 v123, v118, v94
	v_fmac_f16_e32 v111, v38, v12
	v_mul_f16_e32 v12, v113, v96
	v_mul_f16_e32 v38, v114, v95
	v_fmac_f16_e32 v13, v41, v118
	v_fmac_f16_e32 v42, v37, v108
	v_fma_f16 v116, v39, v113, -v116
	v_fma_f16 v115, v41, v119, -v123
	v_add_f16_e32 v41, v111, v98
	v_fmac_f16_e32 v12, v39, v92
	v_fmac_f16_e32 v38, v40, v93
	v_add_f16_e32 v39, v42, v13
	v_mul_f16_e32 v110, v93, v95
	v_mul_f16_e32 v121, v108, v129
	v_sub_f16_e32 v122, v105, v107
	v_add_f16_e32 v93, v38, v12
	v_add_f16_e32 v94, v41, v39
	v_fma_f16 v110, v40, v114, -v110
	v_fma_f16 v121, v37, v112, -v121
	v_sub_f16_e32 v44, v109, v117
	v_add_f16_e32 v96, v117, v109
	v_add_f16_e32 v94, v93, v94
	v_sub_f16_e32 v120, v110, v116
	v_add_f16_e32 v109, v110, v116
	v_sub_f16_e32 v12, v38, v12
	v_sub_f16_e32 v13, v42, v13
	s_waitcnt lgkmcnt(0)
	v_add_f16_e32 v108, v30, v94
	v_add_f16_e32 v30, v105, v107
	;; [unrolled: 1-line block ×4, first 2 shown]
	v_sub_f16_e32 v95, v102, v99
	v_sub_f16_e32 v99, v93, v39
	;; [unrolled: 1-line block ×3, first 2 shown]
	v_add_f16_e32 v110, v30, v105
	v_sub_f16_e32 v112, v109, v105
	v_sub_f16_e32 v93, v41, v93
	v_mul_f16_e32 v99, 0x2b26, v99
	v_sub_f16_e32 v37, v121, v115
	v_add_f16_e32 v110, v109, v110
	v_mul_f16_e32 v42, 0x2b26, v112
	v_fmamk_f16 v94, v94, 0xbcab, v108
	v_fmamk_f16 v107, v93, 0x3a52, v99
	v_mul_f16_e32 v93, 0x3a52, v93
	v_add_f16_e32 v109, v36, v110
	v_sub_f16_e32 v36, v111, v98
	v_sub_f16_e32 v98, v12, v13
	v_fmamk_f16 v112, v38, 0x3a52, v42
	v_mul_f16_e32 v38, 0x3a52, v38
	v_sub_f16_e32 v30, v105, v30
	v_sub_f16_e32 v113, v36, v12
	v_add_f16_e32 v12, v12, v13
	v_sub_f16_e32 v13, v13, v36
	v_sub_f16_e32 v46, v49, v103
	;; [unrolled: 1-line block ×3, first 2 shown]
	v_add_f16_e32 v49, v103, v49
	v_add_f16_e32 v116, v36, v12
	v_sub_f16_e32 v12, v39, v41
	v_mul_hi_u32 v39, 0xbf112a8b, v52
	v_add_f16_e32 v103, v120, v37
	v_sub_f16_e32 v37, v37, v122
	v_fmamk_f16 v110, v110, 0xbcab, v109
	v_fma_f16 v36, v12, 0xb9e0, -v93
	v_sub_f16_e32 v92, v122, v120
	v_mul_f16_e32 v40, 0xb846, v40
	v_mul_f16_e32 v115, 0x3b00, v37
	v_lshrrev_b32_e32 v39, 8, v39
	v_add_f16_e32 v93, v36, v94
	v_fma_f16 v36, v30, 0xb9e0, -v38
	v_fmamk_f16 v102, v92, 0x3574, v40
	v_mul_f16_e32 v98, 0xb846, v98
	v_mul_u32_u24_e32 v38, 0x157, v39
	v_fma_f16 v41, v92, 0xb574, -v115
	v_add_f16_e32 v117, v36, v110
	v_fma_f16 v36, v12, 0x39e0, -v99
	v_mul_f16_e32 v92, 0x3b00, v13
	v_sub_nc_u32_e32 v99, v52, v38
	v_add_f16_e32 v107, v107, v94
	v_fma_f16 v30, v30, 0x39e0, -v42
	v_add_f16_e32 v42, v36, v94
	v_fma_f16 v105, v113, 0xb574, -v92
	v_add_nc_u32_e32 v94, 0x157, v99
	v_fma_f16 v92, v13, 0x3b00, -v98
	v_mad_u64_u32 v[12:13], null, s2, v99, 0
	v_fma_f16 v40, v37, 0x3b00, -v40
	v_mad_u64_u32 v[36:37], null, s2, v94, 0
	v_fmac_f16_e32 v92, 0x370e, v116
	v_add_f16_e32 v30, v30, v110
	v_add_f16_e32 v103, v122, v103
	v_mad_u64_u32 v[38:39], null, s3, v99, v[13:14]
	v_add_f16_e32 v112, v112, v110
	v_add_f16_e32 v110, v92, v30
	v_sub_f16_e32 v118, v30, v92
	v_mov_b32_e32 v30, v37
	v_fmamk_f16 v114, v113, 0x3574, v98
	v_fmac_f16_e32 v40, 0x370e, v103
	v_mov_b32_e32 v13, v38
	v_fmac_f16_e32 v102, 0x370e, v103
	v_mad_u64_u32 v[37:38], null, s3, v94, v[30:31]
	v_add_co_u32 v30, vcc_lo, s10, v18
	v_add_co_ci_u32_e32 v38, vcc_lo, s11, v19, vcc_lo
	v_fmac_f16_e32 v114, 0x370e, v116
	v_fmac_f16_e32 v41, 0x370e, v103
	;; [unrolled: 1-line block ×3, first 2 shown]
	v_sub_f16_e32 v103, v42, v40
	v_add_f16_e32 v116, v40, v42
	v_lshlrev_b64 v[18:19], 2, v[12:13]
	v_add_nc_u32_e32 v40, 0x2ae, v99
	v_add_co_u32 v12, vcc_lo, v30, v16
	v_add_nc_u32_e32 v30, 0x405, v99
	v_add_co_ci_u32_e32 v13, vcc_lo, v38, v17, vcc_lo
	v_mad_u64_u32 v[16:17], null, s2, v40, 0
	v_mad_u64_u32 v[38:39], null, s2, v30, 0
	v_add_co_u32 v18, vcc_lo, v12, v18
	v_add_f16_e32 v111, v102, v107
	v_add_f16_e32 v115, v41, v93
	v_sub_f16_e32 v119, v93, v41
	v_sub_f16_e32 v92, v107, v102
	v_add_f16_e32 v93, v114, v112
	v_add_nc_u32_e32 v102, 0x55c, v99
	v_mad_u64_u32 v[40:41], null, s3, v40, v[17:18]
	v_mov_b32_e32 v17, v39
	v_lshlrev_b64 v[36:37], 2, v[36:37]
	v_mad_u64_u32 v[41:42], null, s2, v102, 0
	v_pack_b32_f16 v39, v93, v92
	v_mad_u64_u32 v[92:93], null, s3, v30, v[17:18]
	v_add_co_ci_u32_e32 v19, vcc_lo, v13, v19, vcc_lo
	v_add_co_u32 v36, vcc_lo, v12, v36
	v_pack_b32_f16 v94, v109, v108
	v_mov_b32_e32 v17, v40
	v_add_nc_u32_e32 v40, 49, v52
	v_add_co_ci_u32_e32 v37, vcc_lo, v13, v37, vcc_lo
	global_store_dword v[18:19], v94, off
	global_store_dword v[36:37], v39, off
	v_mov_b32_e32 v18, v42
	v_mov_b32_e32 v39, v92
	v_mul_hi_u32 v92, 0xbf112a8b, v40
	v_add_nc_u32_e32 v93, 0x6b3, v99
	v_add_nc_u32_e32 v99, 0x80a, v99
	v_mad_u64_u32 v[18:19], null, s3, v102, v[18:19]
	v_lshlrev_b64 v[36:37], 2, v[38:39]
	v_lshlrev_b64 v[16:17], 2, v[16:17]
	v_sub_f16_e32 v98, v117, v105
	v_lshrrev_b32_e32 v94, 8, v92
	v_add_f16_e32 v30, v105, v117
	v_pack_b32_f16 v102, v118, v116
	v_mov_b32_e32 v42, v18
	v_mad_u64_u32 v[18:19], null, s2, v93, 0
	v_mul_u32_u24_e32 v92, 0x157, v94
	v_add_co_u32 v16, vcc_lo, v12, v16
	v_lshlrev_b64 v[38:39], 2, v[41:42]
	v_add_co_ci_u32_e32 v17, vcc_lo, v13, v17, vcc_lo
	v_sub_nc_u32_e32 v42, v40, v92
	v_mad_u64_u32 v[40:41], null, s2, v99, 0
	v_mad_u64_u32 v[92:93], null, s3, v93, v[19:20]
	v_mad_u32_u24 v105, 0x961, v94, v42
	v_add_co_u32 v36, vcc_lo, v12, v36
	v_add_co_ci_u32_e32 v37, vcc_lo, v13, v37, vcc_lo
	v_mov_b32_e32 v19, v41
	v_mad_u64_u32 v[93:94], null, s2, v105, 0
	v_pack_b32_f16 v30, v30, v119
	v_add_co_u32 v38, vcc_lo, v12, v38
	v_mad_u64_u32 v[41:42], null, s3, v99, v[19:20]
	v_mov_b32_e32 v19, v92
	v_add_co_ci_u32_e32 v39, vcc_lo, v13, v39, vcc_lo
	v_pack_b32_f16 v103, v110, v103
	global_store_dword v[16:17], v30, off
	global_store_dword v[36:37], v102, off
	;; [unrolled: 1-line block ×3, first 2 shown]
	v_lshlrev_b64 v[17:18], 2, v[18:19]
	v_mov_b32_e32 v16, v94
	v_add_nc_u32_e32 v92, 0x157, v105
	v_add_nc_u32_e32 v99, 0x2ae, v105
	v_sub_f16_e32 v113, v112, v114
	v_pack_b32_f16 v98, v98, v115
	v_mad_u64_u32 v[36:37], null, s3, v105, v[16:17]
	v_mad_u64_u32 v[37:38], null, s2, v92, 0
	v_add_co_u32 v16, vcc_lo, v12, v17
	v_add_co_ci_u32_e32 v17, vcc_lo, v13, v18, vcc_lo
	v_lshlrev_b64 v[18:19], 2, v[40:41]
	v_mad_u64_u32 v[39:40], null, s2, v99, 0
	v_mov_b32_e32 v94, v36
	v_mov_b32_e32 v30, v38
	v_pack_b32_f16 v36, v113, v111
	v_add_co_u32 v18, vcc_lo, v12, v18
	v_lshlrev_b64 v[41:42], 2, v[93:94]
	v_mad_u64_u32 v[92:93], null, s3, v92, v[30:31]
	v_mov_b32_e32 v30, v40
	v_add_co_ci_u32_e32 v19, vcc_lo, v13, v19, vcc_lo
	v_add_co_u32 v40, vcc_lo, v12, v41
	v_mad_u64_u32 v[93:94], null, s3, v99, v[30:31]
	v_add_co_ci_u32_e32 v41, vcc_lo, v13, v42, vcc_lo
	v_pack_b32_f16 v30, v106, v97
	v_add_nc_u32_e32 v42, 0x405, v105
	v_mov_b32_e32 v38, v92
	global_store_dword v[16:17], v98, off
	global_store_dword v[18:19], v36, off
	v_pack_b32_f16 v94, v96, v95
	global_store_dword v[40:41], v30, off
	v_mov_b32_e32 v40, v93
	v_add_nc_u32_e32 v30, 0x55c, v105
	v_mad_u64_u32 v[18:19], null, s2, v42, 0
	v_lshlrev_b64 v[16:17], 2, v[37:38]
	v_lshlrev_b64 v[36:37], 2, v[39:40]
	v_mad_u64_u32 v[38:39], null, s2, v30, 0
	v_add_nc_u32_e32 v95, 0x62, v52
	v_add_nc_u32_e32 v96, 0x6b3, v105
	v_mad_u64_u32 v[40:41], null, s3, v42, v[19:20]
	v_add_co_u32 v16, vcc_lo, v12, v16
	v_mul_hi_u32 v97, 0xbf112a8b, v95
	v_mov_b32_e32 v19, v39
	v_add_co_ci_u32_e32 v17, vcc_lo, v13, v17, vcc_lo
	v_mad_u64_u32 v[41:42], null, s2, v96, 0
	v_add_co_u32 v36, vcc_lo, v12, v36
	v_mad_u64_u32 v[92:93], null, s3, v30, v[19:20]
	v_mov_b32_e32 v19, v40
	v_add_co_ci_u32_e32 v37, vcc_lo, v13, v37, vcc_lo
	v_pack_b32_f16 v39, v49, v104
	v_lshrrev_b32_e32 v30, 8, v97
	global_store_dword v[16:17], v94, off
	global_store_dword v[36:37], v39, off
	v_lshlrev_b64 v[17:18], 2, v[18:19]
	v_mov_b32_e32 v16, v42
	v_mul_u32_u24_e32 v40, 0x157, v30
	v_mov_b32_e32 v39, v92
	v_add_nc_u32_e32 v49, 0x80a, v105
	v_pack_b32_f16 v94, v101, v100
	v_mad_u64_u32 v[36:37], null, s3, v96, v[16:17]
	v_sub_nc_u32_e32 v37, v95, v40
	v_add_co_u32 v16, vcc_lo, v12, v17
	v_add_co_ci_u32_e32 v17, vcc_lo, v13, v18, vcc_lo
	v_lshlrev_b64 v[18:19], 2, v[38:39]
	v_mad_u32_u24 v95, 0x961, v30, v37
	v_mad_u64_u32 v[37:38], null, s2, v49, 0
	v_mov_b32_e32 v42, v36
	v_pack_b32_f16 v36, v48, v47
	v_add_nc_u32_e32 v96, 0x157, v95
	v_add_co_u32 v18, vcc_lo, v12, v18
	v_add_co_ci_u32_e32 v19, vcc_lo, v13, v19, vcc_lo
	v_mov_b32_e32 v30, v38
	v_mad_u64_u32 v[39:40], null, s2, v95, 0
	global_store_dword v[16:17], v94, off
	global_store_dword v[18:19], v36, off
	v_lshlrev_b64 v[41:42], 2, v[41:42]
	v_mad_u64_u32 v[47:48], null, s3, v49, v[30:31]
	v_mad_u64_u32 v[48:49], null, s2, v96, 0
	v_mov_b32_e32 v30, v40
	v_add_co_u32 v40, vcc_lo, v12, v41
	v_add_co_ci_u32_e32 v41, vcc_lo, v13, v42, vcc_lo
	v_mov_b32_e32 v38, v47
	v_mov_b32_e32 v16, v49
	v_add_nc_u32_e32 v42, 0x2ae, v95
	v_mad_u64_u32 v[92:93], null, s3, v95, v[30:31]
	v_lshlrev_b64 v[17:18], 2, v[37:38]
	v_pack_b32_f16 v30, v46, v45
	v_add_nc_u32_e32 v45, 0x405, v95
	v_pack_b32_f16 v47, v44, v43
	v_pack_b32_f16 v15, v28, v15
	;; [unrolled: 1-line block ×3, first 2 shown]
	v_mad_u64_u32 v[36:37], null, s3, v96, v[16:17]
	global_store_dword v[40:41], v30, off
	v_mov_b32_e32 v40, v92
	v_add_co_u32 v16, vcc_lo, v12, v17
	v_add_co_ci_u32_e32 v17, vcc_lo, v13, v18, vcc_lo
	v_mov_b32_e32 v49, v36
	v_mad_u64_u32 v[36:37], null, s2, v42, 0
	v_lshlrev_b64 v[18:19], 2, v[39:40]
	v_mad_u64_u32 v[40:41], null, s2, v45, 0
	v_lshlrev_b64 v[38:39], 2, v[48:49]
	v_add_nc_u32_e32 v49, 0x55c, v95
	v_pack_b32_f16 v48, v91, v88
	v_mov_b32_e32 v30, v37
	v_add_co_u32 v18, vcc_lo, v12, v18
	v_add_co_ci_u32_e32 v19, vcc_lo, v13, v19, vcc_lo
	v_mad_u64_u32 v[42:43], null, s3, v42, v[30:31]
	v_mad_u64_u32 v[43:44], null, s2, v49, 0
	v_add_co_u32 v38, vcc_lo, v12, v38
	v_add_co_ci_u32_e32 v39, vcc_lo, v13, v39, vcc_lo
	v_mov_b32_e32 v37, v42
	v_mov_b32_e32 v30, v41
	global_store_dword v[16:17], v47, off
	global_store_dword v[18:19], v48, off
	;; [unrolled: 1-line block ×3, first 2 shown]
	v_mov_b32_e32 v15, v44
	v_lshlrev_b64 v[16:17], 2, v[36:37]
	v_mad_u64_u32 v[45:46], null, s3, v45, v[30:31]
	v_add_nc_u32_e32 v30, 0x93, v52
	v_add_nc_u32_e32 v42, 0x6b3, v95
	;; [unrolled: 1-line block ×3, first 2 shown]
	v_mad_u64_u32 v[18:19], null, s3, v49, v[15:16]
	v_mul_hi_u32 v19, 0xbf112a8b, v30
	v_mov_b32_e32 v41, v45
	v_pack_b32_f16 v45, v14, v29
	v_add_co_u32 v15, vcc_lo, v12, v16
	v_add_co_ci_u32_e32 v16, vcc_lo, v13, v17, vcc_lo
	v_lshlrev_b64 v[28:29], 2, v[40:41]
	v_lshrrev_b32_e32 v40, 8, v19
	v_mov_b32_e32 v44, v18
	v_mad_u64_u32 v[17:18], null, s2, v42, 0
	v_mad_u64_u32 v[38:39], null, s2, v47, 0
	v_mul_u32_u24_e32 v19, 0x157, v40
	v_lshlrev_b64 v[36:37], 2, v[43:44]
	v_add_co_u32 v28, vcc_lo, v12, v28
	v_mov_b32_e32 v14, v18
	v_sub_nc_u32_e32 v30, v30, v19
	v_add_co_ci_u32_e32 v29, vcc_lo, v13, v29, vcc_lo
	v_add_co_u32 v36, vcc_lo, v12, v36
	v_mad_u32_u24 v44, 0x961, v40, v30
	v_mad_u64_u32 v[18:19], null, s3, v42, v[14:15]
	v_mov_b32_e32 v14, v39
	v_pack_b32_f16 v46, v90, v89
	v_mad_u64_u32 v[40:41], null, s2, v44, 0
	v_add_co_ci_u32_e32 v37, vcc_lo, v13, v37, vcc_lo
	v_pack_b32_f16 v19, v87, v86
	v_mad_u64_u32 v[42:43], null, s3, v47, v[14:15]
	global_store_dword v[15:16], v45, off
	global_store_dword v[28:29], v46, off
	;; [unrolled: 1-line block ×3, first 2 shown]
	v_lshlrev_b64 v[15:16], 2, v[17:18]
	v_mov_b32_e32 v14, v41
	v_add_nc_u32_e32 v30, 0x157, v44
	v_add_nc_u32_e32 v43, 0x2ae, v44
	v_pack_b32_f16 v31, v32, v31
	v_mov_b32_e32 v39, v42
	v_mad_u64_u32 v[17:18], null, s3, v44, v[14:15]
	v_mad_u64_u32 v[18:19], null, s2, v30, 0
	v_add_co_u32 v14, vcc_lo, v12, v15
	v_mad_u64_u32 v[36:37], null, s2, v43, 0
	v_mov_b32_e32 v41, v17
	v_add_co_ci_u32_e32 v15, vcc_lo, v13, v16, vcc_lo
	v_lshlrev_b64 v[28:29], 2, v[38:39]
	v_mov_b32_e32 v16, v19
	v_lshlrev_b64 v[38:39], 2, v[40:41]
	v_pack_b32_f16 v42, v63, v62
	v_pack_b32_f16 v41, v61, v60
	;; [unrolled: 1-line block ×3, first 2 shown]
	v_mad_u64_u32 v[16:17], null, s3, v30, v[16:17]
	v_add_co_u32 v28, vcc_lo, v12, v28
	v_mov_b32_e32 v17, v37
	v_add_co_ci_u32_e32 v29, vcc_lo, v13, v29, vcc_lo
	v_add_co_u32 v37, vcc_lo, v12, v38
	v_add_co_ci_u32_e32 v38, vcc_lo, v13, v39, vcc_lo
	v_mad_u64_u32 v[39:40], null, s3, v43, v[17:18]
	v_mov_b32_e32 v19, v16
	v_pack_b32_f16 v16, v85, v84
	global_store_dword v[14:15], v42, off
	global_store_dword v[28:29], v41, off
	v_add_nc_u32_e32 v30, 0x405, v44
	v_add_nc_u32_e32 v42, 0xc4, v52
	v_lshlrev_b64 v[14:15], 2, v[18:19]
	global_store_dword v[37:38], v16, off
	v_mov_b32_e32 v37, v39
	v_add_nc_u32_e32 v39, 0x55c, v44
	v_mad_u64_u32 v[16:17], null, s2, v30, 0
	v_add_co_u32 v14, vcc_lo, v12, v14
	v_lshlrev_b64 v[18:19], 2, v[36:37]
	v_add_co_ci_u32_e32 v15, vcc_lo, v13, v15, vcc_lo
	v_mad_u64_u32 v[28:29], null, s2, v39, 0
	v_add_nc_u32_e32 v41, 0x6b3, v44
	v_add_co_u32 v18, vcc_lo, v12, v18
	v_pack_b32_f16 v40, v59, v51
	v_add_co_ci_u32_e32 v19, vcc_lo, v13, v19, vcc_lo
	v_mad_u64_u32 v[36:37], null, s3, v30, v[17:18]
	v_mov_b32_e32 v17, v29
	v_mad_u64_u32 v[37:38], null, s2, v41, 0
	global_store_dword v[14:15], v40, off
	v_pack_b32_f16 v43, v82, v81
	v_mad_u64_u32 v[29:30], null, s3, v39, v[17:18]
	v_mov_b32_e32 v17, v36
	v_mul_hi_u32 v36, 0xbf112a8b, v42
	v_pack_b32_f16 v30, v50, v83
	v_mov_b32_e32 v14, v38
	v_add_nc_u32_e32 v39, 0x80a, v44
	v_lshlrev_b64 v[15:16], 2, v[16:17]
	v_pack_b32_f16 v44, v80, v79
	global_store_dword v[18:19], v30, off
	v_pack_b32_f16 v24, v26, v24
	v_lshrrev_b32_e32 v30, 8, v36
	v_pack_b32_f16 v3, v11, v3
	v_mad_u64_u32 v[17:18], null, s3, v41, v[14:15]
	v_lshlrev_b64 v[18:19], 2, v[28:29]
	v_mul_u32_u24_e32 v36, 0x157, v30
	v_add_co_u32 v14, vcc_lo, v12, v15
	v_add_co_ci_u32_e32 v15, vcc_lo, v13, v16, vcc_lo
	v_sub_nc_u32_e32 v28, v42, v36
	v_mov_b32_e32 v38, v17
	v_mad_u64_u32 v[16:17], null, s2, v39, 0
	v_add_co_u32 v18, vcc_lo, v12, v18
	v_mad_u32_u24 v30, 0x961, v30, v28
	v_lshlrev_b64 v[28:29], 2, v[37:38]
	v_add_co_ci_u32_e32 v19, vcc_lo, v13, v19, vcc_lo
	v_mad_u64_u32 v[38:39], null, s3, v39, v[17:18]
	v_mad_u64_u32 v[36:37], null, s2, v30, 0
	v_add_nc_u32_e32 v45, 0x157, v30
	v_add_co_u32 v28, vcc_lo, v12, v28
	v_add_co_ci_u32_e32 v29, vcc_lo, v13, v29, vcc_lo
	v_mad_u64_u32 v[39:40], null, s2, v45, 0
	v_mov_b32_e32 v17, v37
	v_pack_b32_f16 v37, v78, v70
	global_store_dword v[14:15], v43, off
	global_store_dword v[18:19], v44, off
	;; [unrolled: 1-line block ×3, first 2 shown]
	v_mad_u64_u32 v[41:42], null, s3, v30, v[17:18]
	v_mov_b32_e32 v17, v38
	v_mov_b32_e32 v14, v40
	v_add_nc_u32_e32 v42, 0x2ae, v30
	v_add_nc_u32_e32 v43, 0x405, v30
	v_pack_b32_f16 v44, v75, v74
	v_lshlrev_b64 v[15:16], 2, v[16:17]
	v_mov_b32_e32 v37, v41
	v_pack_b32_f16 v41, v69, v64
	v_pack_b32_f16 v5, v9, v5
	;; [unrolled: 1-line block ×4, first 2 shown]
	v_mad_u64_u32 v[17:18], null, s3, v45, v[14:15]
	v_mad_u64_u32 v[18:19], null, s2, v42, 0
	v_add_co_u32 v14, vcc_lo, v12, v15
	v_lshlrev_b64 v[28:29], 2, v[36:37]
	v_mad_u64_u32 v[36:37], null, s2, v43, 0
	v_mov_b32_e32 v40, v17
	v_add_co_ci_u32_e32 v15, vcc_lo, v13, v16, vcc_lo
	v_mov_b32_e32 v16, v19
	v_add_co_u32 v28, vcc_lo, v12, v28
	v_lshlrev_b64 v[38:39], 2, v[39:40]
	v_add_co_ci_u32_e32 v29, vcc_lo, v13, v29, vcc_lo
	v_mad_u64_u32 v[16:17], null, s3, v42, v[16:17]
	v_mov_b32_e32 v17, v37
	v_add_co_u32 v37, vcc_lo, v12, v38
	v_add_co_ci_u32_e32 v38, vcc_lo, v13, v39, vcc_lo
	v_mad_u64_u32 v[39:40], null, s3, v43, v[17:18]
	v_mov_b32_e32 v19, v16
	v_pack_b32_f16 v16, v68, v67
	global_store_dword v[14:15], v41, off
	global_store_dword v[28:29], v44, off
	v_add_nc_u32_e32 v40, 0x55c, v30
	v_add_nc_u32_e32 v41, 0x6b3, v30
	v_lshlrev_b64 v[14:15], 2, v[18:19]
	global_store_dword v[37:38], v16, off
	v_mov_b32_e32 v37, v39
	v_mad_u64_u32 v[16:17], null, s2, v40, 0
	v_add_nc_u32_e32 v42, 0xf5, v52
	v_add_co_u32 v14, vcc_lo, v12, v14
	v_lshlrev_b64 v[18:19], 2, v[36:37]
	v_add_co_ci_u32_e32 v15, vcc_lo, v13, v15, vcc_lo
	v_mad_u64_u32 v[28:29], null, s2, v41, 0
	v_mul_hi_u32 v38, 0xbf112a8b, v42
	v_add_co_u32 v18, vcc_lo, v12, v18
	v_add_nc_u32_e32 v43, 0x80a, v30
	v_pack_b32_f16 v39, v66, v65
	v_add_co_ci_u32_e32 v19, vcc_lo, v13, v19, vcc_lo
	v_mad_u64_u32 v[36:37], null, s3, v40, v[17:18]
	v_mov_b32_e32 v17, v29
	v_lshrrev_b32_e32 v40, 8, v38
	v_mad_u64_u32 v[37:38], null, s2, v43, 0
	v_pack_b32_f16 v44, v77, v76
	v_mad_u64_u32 v[29:30], null, s3, v41, v[17:18]
	v_mov_b32_e32 v17, v36
	v_mul_u32_u24_e32 v30, 0x157, v40
	global_store_dword v[14:15], v39, off
	global_store_dword v[18:19], v44, off
	v_mov_b32_e32 v14, v38
	v_pack_b32_f16 v41, v21, v73
	v_lshlrev_b64 v[15:16], 2, v[16:17]
	v_sub_nc_u32_e32 v19, v42, v30
	v_pack_b32_f16 v42, v20, v72
	v_pack_b32_f16 v0, v4, v0
	v_mad_u64_u32 v[17:18], null, s3, v43, v[14:15]
	v_mad_u32_u24 v40, 0x961, v40, v19
	v_lshlrev_b64 v[18:19], 2, v[28:29]
	v_add_co_u32 v14, vcc_lo, v12, v15
	v_add_co_ci_u32_e32 v15, vcc_lo, v13, v16, vcc_lo
	v_mad_u64_u32 v[28:29], null, s2, v40, 0
	v_mov_b32_e32 v38, v17
	v_add_co_u32 v16, vcc_lo, v12, v18
	v_add_co_ci_u32_e32 v17, vcc_lo, v13, v19, vcc_lo
	v_lshlrev_b64 v[19:20], 2, v[37:38]
	v_mov_b32_e32 v18, v29
	v_add_nc_u32_e32 v21, 0x157, v40
	v_pack_b32_f16 v43, v57, v56
	v_mad_u64_u32 v[29:30], null, s3, v40, v[18:19]
	v_add_nc_u32_e32 v30, 0x2ae, v40
	v_mad_u64_u32 v[36:37], null, s2, v21, 0
	v_add_co_u32 v18, vcc_lo, v12, v19
	v_mad_u64_u32 v[38:39], null, s2, v30, 0
	v_add_co_ci_u32_e32 v19, vcc_lo, v13, v20, vcc_lo
	v_mov_b32_e32 v20, v37
	v_pack_b32_f16 v37, v71, v58
	global_store_dword v[14:15], v41, off
	global_store_dword v[16:17], v42, off
	global_store_dword v[18:19], v37, off
	v_lshlrev_b64 v[15:16], 2, v[28:29]
	v_mov_b32_e32 v14, v39
	v_mad_u64_u32 v[20:21], null, s3, v21, v[20:21]
	v_add_nc_u32_e32 v41, 0x405, v40
	v_add_nc_u32_e32 v42, 0x55c, v40
	v_mad_u64_u32 v[17:18], null, s3, v30, v[14:15]
	v_add_co_u32 v14, vcc_lo, v12, v15
	v_mad_u64_u32 v[18:19], null, s2, v41, 0
	v_mov_b32_e32 v37, v20
	v_mad_u64_u32 v[28:29], null, s2, v42, 0
	v_mov_b32_e32 v39, v17
	v_add_co_ci_u32_e32 v15, vcc_lo, v13, v16, vcc_lo
	v_lshlrev_b64 v[20:21], 2, v[36:37]
	v_mov_b32_e32 v16, v19
	v_lshlrev_b64 v[36:37], 2, v[38:39]
	v_add_nc_u32_e32 v38, 0x126, v52
	v_mad_u64_u32 v[16:17], null, s3, v41, v[16:17]
	v_add_co_u32 v20, vcc_lo, v12, v20
	v_mov_b32_e32 v17, v29
	v_mul_hi_u32 v39, 0xbf112a8b, v38
	v_add_co_ci_u32_e32 v21, vcc_lo, v13, v21, vcc_lo
	v_add_co_u32 v29, vcc_lo, v12, v36
	v_add_co_ci_u32_e32 v30, vcc_lo, v13, v37, vcc_lo
	v_pack_b32_f16 v41, v54, v53
	v_mad_u64_u32 v[36:37], null, s3, v42, v[17:18]
	global_store_dword v[14:15], v34, off
	global_store_dword v[20:21], v43, off
	;; [unrolled: 1-line block ×3, first 2 shown]
	v_lshrrev_b32_e32 v20, 8, v39
	v_mov_b32_e32 v19, v16
	v_add_nc_u32_e32 v30, 0x6b3, v40
	v_pack_b32_f16 v37, v35, v33
	v_mov_b32_e32 v29, v36
	v_add_nc_u32_e32 v36, 0x80a, v40
	v_mul_u32_u24_e32 v21, 0x157, v20
	v_lshlrev_b64 v[14:15], 2, v[18:19]
	v_mad_u64_u32 v[16:17], null, s2, v30, 0
	v_mad_u64_u32 v[18:19], null, s2, v36, 0
	v_sub_nc_u32_e32 v21, v38, v21
	v_add_co_u32 v14, vcc_lo, v12, v14
	v_add_co_ci_u32_e32 v15, vcc_lo, v13, v15, vcc_lo
	v_mad_u32_u24 v38, 0x961, v20, v21
	v_lshlrev_b64 v[20:21], 2, v[28:29]
	v_mad_u64_u32 v[33:34], null, s3, v30, v[17:18]
	global_store_dword v[14:15], v37, off
	v_mad_u64_u32 v[28:29], null, s2, v38, 0
	v_mad_u64_u32 v[34:35], null, s3, v36, v[19:20]
	v_add_co_u32 v20, vcc_lo, v12, v20
	v_mov_b32_e32 v17, v33
	v_add_co_ci_u32_e32 v21, vcc_lo, v13, v21, vcc_lo
	v_mad_u64_u32 v[29:30], null, s3, v38, v[29:30]
	v_mov_b32_e32 v19, v34
	v_lshlrev_b64 v[14:15], 2, v[16:17]
	v_add_nc_u32_e32 v30, 0x157, v38
	global_store_dword v[20:21], v31, off
	v_add_nc_u32_e32 v26, 0x405, v38
	v_lshlrev_b64 v[16:17], 2, v[18:19]
	v_lshlrev_b64 v[20:21], 2, v[28:29]
	v_add_co_u32 v14, vcc_lo, v12, v14
	v_mad_u64_u32 v[18:19], null, s2, v30, 0
	v_add_co_ci_u32_e32 v15, vcc_lo, v13, v15, vcc_lo
	v_add_co_u32 v16, vcc_lo, v12, v16
	v_add_co_ci_u32_e32 v17, vcc_lo, v13, v17, vcc_lo
	v_mad_u64_u32 v[27:28], null, s3, v30, v[19:20]
	global_store_dword v[14:15], v25, off
	global_store_dword v[16:17], v24, off
	v_add_nc_u32_e32 v24, 0x2ae, v38
	v_add_co_u32 v20, vcc_lo, v12, v20
	v_add_co_ci_u32_e32 v21, vcc_lo, v13, v21, vcc_lo
	v_mad_u64_u32 v[16:17], null, s2, v24, 0
	v_mov_b32_e32 v19, v27
	v_add_nc_u32_e32 v27, 0x55c, v38
	global_store_dword v[20:21], v3, off
	v_add_nc_u32_e32 v28, 0x6b3, v38
	v_lshlrev_b64 v[14:15], 2, v[18:19]
	v_mad_u64_u32 v[18:19], null, s2, v26, 0
	v_mov_b32_e32 v3, v17
	v_mad_u64_u32 v[20:21], null, s2, v27, 0
	v_add_co_u32 v14, vcc_lo, v12, v14
	v_mad_u64_u32 v[24:25], null, s3, v24, v[3:4]
	v_mov_b32_e32 v11, v19
	v_pack_b32_f16 v19, v23, v22
	v_mov_b32_e32 v3, v21
	v_add_co_ci_u32_e32 v15, vcc_lo, v13, v15, vcc_lo
	v_mad_u64_u32 v[22:23], null, s3, v26, v[11:12]
	v_mov_b32_e32 v17, v24
	v_mad_u64_u32 v[23:24], null, s3, v27, v[3:4]
	v_mad_u64_u32 v[25:26], null, s2, v28, 0
	v_add_nc_u32_e32 v24, 0x80a, v38
	global_store_dword v[14:15], v19, off
	v_lshlrev_b64 v[14:15], 2, v[16:17]
	v_mov_b32_e32 v19, v22
	v_mov_b32_e32 v21, v23
	v_mad_u64_u32 v[16:17], null, s2, v24, 0
	v_mov_b32_e32 v3, v26
	v_add_co_u32 v14, vcc_lo, v12, v14
	v_add_co_ci_u32_e32 v15, vcc_lo, v13, v15, vcc_lo
	v_mad_u64_u32 v[22:23], null, s3, v28, v[3:4]
	v_mov_b32_e32 v3, v17
	v_pack_b32_f16 v23, v10, v7
	v_lshlrev_b64 v[10:11], 2, v[18:19]
	v_lshlrev_b64 v[18:19], 2, v[20:21]
	v_mad_u64_u32 v[20:21], null, s3, v24, v[3:4]
	v_mov_b32_e32 v26, v22
	v_add_co_u32 v10, vcc_lo, v12, v10
	v_add_co_ci_u32_e32 v11, vcc_lo, v13, v11, vcc_lo
	v_lshlrev_b64 v[21:22], 2, v[25:26]
	v_mov_b32_e32 v17, v20
	v_add_co_u32 v18, vcc_lo, v12, v18
	v_add_co_ci_u32_e32 v19, vcc_lo, v13, v19, vcc_lo
	v_lshlrev_b64 v[2:3], 2, v[16:17]
	v_add_co_u32 v7, vcc_lo, v12, v21
	v_add_co_ci_u32_e32 v8, vcc_lo, v13, v22, vcc_lo
	v_add_co_u32 v1, vcc_lo, v12, v2
	v_add_co_ci_u32_e32 v2, vcc_lo, v13, v3, vcc_lo
	global_store_dword v[14:15], v23, off
	global_store_dword v[10:11], v5, off
	;; [unrolled: 1-line block ×5, first 2 shown]
.LBB0_15:
	s_endpgm
	.section	.rodata,"a",@progbits
	.p2align	6, 0x0
	.amdhsa_kernel fft_rtc_fwd_len2401_factors_7_7_7_7_wgs_49_tpt_49_halfLds_half_op_CI_CI_sbrr_dirReg
		.amdhsa_group_segment_fixed_size 0
		.amdhsa_private_segment_fixed_size 0
		.amdhsa_kernarg_size 104
		.amdhsa_user_sgpr_count 6
		.amdhsa_user_sgpr_private_segment_buffer 1
		.amdhsa_user_sgpr_dispatch_ptr 0
		.amdhsa_user_sgpr_queue_ptr 0
		.amdhsa_user_sgpr_kernarg_segment_ptr 1
		.amdhsa_user_sgpr_dispatch_id 0
		.amdhsa_user_sgpr_flat_scratch_init 0
		.amdhsa_user_sgpr_private_segment_size 0
		.amdhsa_wavefront_size32 1
		.amdhsa_uses_dynamic_stack 0
		.amdhsa_system_sgpr_private_segment_wavefront_offset 0
		.amdhsa_system_sgpr_workgroup_id_x 1
		.amdhsa_system_sgpr_workgroup_id_y 0
		.amdhsa_system_sgpr_workgroup_id_z 0
		.amdhsa_system_sgpr_workgroup_info 0
		.amdhsa_system_vgpr_workitem_id 0
		.amdhsa_next_free_vgpr 170
		.amdhsa_next_free_sgpr 31
		.amdhsa_reserve_vcc 1
		.amdhsa_reserve_flat_scratch 0
		.amdhsa_float_round_mode_32 0
		.amdhsa_float_round_mode_16_64 0
		.amdhsa_float_denorm_mode_32 3
		.amdhsa_float_denorm_mode_16_64 3
		.amdhsa_dx10_clamp 1
		.amdhsa_ieee_mode 1
		.amdhsa_fp16_overflow 0
		.amdhsa_workgroup_processor_mode 1
		.amdhsa_memory_ordered 1
		.amdhsa_forward_progress 0
		.amdhsa_shared_vgpr_count 0
		.amdhsa_exception_fp_ieee_invalid_op 0
		.amdhsa_exception_fp_denorm_src 0
		.amdhsa_exception_fp_ieee_div_zero 0
		.amdhsa_exception_fp_ieee_overflow 0
		.amdhsa_exception_fp_ieee_underflow 0
		.amdhsa_exception_fp_ieee_inexact 0
		.amdhsa_exception_int_div_zero 0
	.end_amdhsa_kernel
	.text
.Lfunc_end0:
	.size	fft_rtc_fwd_len2401_factors_7_7_7_7_wgs_49_tpt_49_halfLds_half_op_CI_CI_sbrr_dirReg, .Lfunc_end0-fft_rtc_fwd_len2401_factors_7_7_7_7_wgs_49_tpt_49_halfLds_half_op_CI_CI_sbrr_dirReg
                                        ; -- End function
	.section	.AMDGPU.csdata,"",@progbits
; Kernel info:
; codeLenInByte = 32232
; NumSgprs: 33
; NumVgprs: 170
; ScratchSize: 0
; MemoryBound: 0
; FloatMode: 240
; IeeeMode: 1
; LDSByteSize: 0 bytes/workgroup (compile time only)
; SGPRBlocks: 4
; VGPRBlocks: 21
; NumSGPRsForWavesPerEU: 33
; NumVGPRsForWavesPerEU: 170
; Occupancy: 5
; WaveLimiterHint : 1
; COMPUTE_PGM_RSRC2:SCRATCH_EN: 0
; COMPUTE_PGM_RSRC2:USER_SGPR: 6
; COMPUTE_PGM_RSRC2:TRAP_HANDLER: 0
; COMPUTE_PGM_RSRC2:TGID_X_EN: 1
; COMPUTE_PGM_RSRC2:TGID_Y_EN: 0
; COMPUTE_PGM_RSRC2:TGID_Z_EN: 0
; COMPUTE_PGM_RSRC2:TIDIG_COMP_CNT: 0
	.text
	.p2alignl 6, 3214868480
	.fill 48, 4, 3214868480
	.type	__hip_cuid_109dd6c53c708455,@object ; @__hip_cuid_109dd6c53c708455
	.section	.bss,"aw",@nobits
	.globl	__hip_cuid_109dd6c53c708455
__hip_cuid_109dd6c53c708455:
	.byte	0                               ; 0x0
	.size	__hip_cuid_109dd6c53c708455, 1

	.ident	"AMD clang version 19.0.0git (https://github.com/RadeonOpenCompute/llvm-project roc-6.4.0 25133 c7fe45cf4b819c5991fe208aaa96edf142730f1d)"
	.section	".note.GNU-stack","",@progbits
	.addrsig
	.addrsig_sym __hip_cuid_109dd6c53c708455
	.amdgpu_metadata
---
amdhsa.kernels:
  - .args:
      - .actual_access:  read_only
        .address_space:  global
        .offset:         0
        .size:           8
        .value_kind:     global_buffer
      - .offset:         8
        .size:           8
        .value_kind:     by_value
      - .actual_access:  read_only
        .address_space:  global
        .offset:         16
        .size:           8
        .value_kind:     global_buffer
      - .actual_access:  read_only
        .address_space:  global
        .offset:         24
        .size:           8
        .value_kind:     global_buffer
      - .actual_access:  read_only
        .address_space:  global
        .offset:         32
        .size:           8
        .value_kind:     global_buffer
      - .offset:         40
        .size:           8
        .value_kind:     by_value
      - .actual_access:  read_only
        .address_space:  global
        .offset:         48
        .size:           8
        .value_kind:     global_buffer
      - .actual_access:  read_only
        .address_space:  global
        .offset:         56
        .size:           8
        .value_kind:     global_buffer
      - .offset:         64
        .size:           4
        .value_kind:     by_value
      - .actual_access:  read_only
        .address_space:  global
        .offset:         72
        .size:           8
        .value_kind:     global_buffer
      - .actual_access:  read_only
        .address_space:  global
        .offset:         80
        .size:           8
        .value_kind:     global_buffer
      - .actual_access:  read_only
        .address_space:  global
        .offset:         88
        .size:           8
        .value_kind:     global_buffer
      - .actual_access:  write_only
        .address_space:  global
        .offset:         96
        .size:           8
        .value_kind:     global_buffer
    .group_segment_fixed_size: 0
    .kernarg_segment_align: 8
    .kernarg_segment_size: 104
    .language:       OpenCL C
    .language_version:
      - 2
      - 0
    .max_flat_workgroup_size: 49
    .name:           fft_rtc_fwd_len2401_factors_7_7_7_7_wgs_49_tpt_49_halfLds_half_op_CI_CI_sbrr_dirReg
    .private_segment_fixed_size: 0
    .sgpr_count:     33
    .sgpr_spill_count: 0
    .symbol:         fft_rtc_fwd_len2401_factors_7_7_7_7_wgs_49_tpt_49_halfLds_half_op_CI_CI_sbrr_dirReg.kd
    .uniform_work_group_size: 1
    .uses_dynamic_stack: false
    .vgpr_count:     170
    .vgpr_spill_count: 0
    .wavefront_size: 32
    .workgroup_processor_mode: 1
amdhsa.target:   amdgcn-amd-amdhsa--gfx1030
amdhsa.version:
  - 1
  - 2
...

	.end_amdgpu_metadata
